;; amdgpu-corpus repo=ROCm/rocFFT kind=compiled arch=gfx1201 opt=O3
	.text
	.amdgcn_target "amdgcn-amd-amdhsa--gfx1201"
	.amdhsa_code_object_version 6
	.protected	fft_rtc_fwd_len289_factors_17_17_wgs_119_tpt_17_dp_op_CI_CI_sbcc_twdbase8_3step_dirReg ; -- Begin function fft_rtc_fwd_len289_factors_17_17_wgs_119_tpt_17_dp_op_CI_CI_sbcc_twdbase8_3step_dirReg
	.globl	fft_rtc_fwd_len289_factors_17_17_wgs_119_tpt_17_dp_op_CI_CI_sbcc_twdbase8_3step_dirReg
	.p2align	8
	.type	fft_rtc_fwd_len289_factors_17_17_wgs_119_tpt_17_dp_op_CI_CI_sbcc_twdbase8_3step_dirReg,@function
fft_rtc_fwd_len289_factors_17_17_wgs_119_tpt_17_dp_op_CI_CI_sbcc_twdbase8_3step_dirReg: ; @fft_rtc_fwd_len289_factors_17_17_wgs_119_tpt_17_dp_op_CI_CI_sbcc_twdbase8_3step_dirReg
; %bb.0:
	s_clause 0x1
	s_load_b128 s[16:19], s[0:1], 0x18
	s_load_b64 s[24:25], s[0:1], 0x28
	s_mov_b32 s3, 0
	s_mov_b32 s4, 0x92481000
	s_movk_i32 s5, 0x64
	s_mov_b32 s2, s3
	v_mov_b32_e32 v255, v0
	s_add_nc_u64 s[4:5], s[2:3], s[4:5]
	s_mov_b64 s[22:23], 0
	s_add_co_i32 s5, s5, 0x249248c0
	s_delay_alu instid0(SALU_CYCLE_1) | instskip(NEXT) | instid1(SALU_CYCLE_1)
	s_mul_u64 s[6:7], s[4:5], -7
	s_mul_hi_u32 s9, s4, s7
	s_mul_i32 s8, s4, s7
	s_mul_hi_u32 s2, s4, s6
	s_mul_i32 s11, s5, s6
	s_add_nc_u64 s[8:9], s[2:3], s[8:9]
	s_mul_hi_u32 s10, s5, s6
	s_mul_hi_u32 s12, s5, s7
	s_wait_kmcnt 0x0
	s_load_b64 s[26:27], s[16:17], 0x8
	s_add_co_u32 s2, s8, s11
	s_add_co_ci_u32 s2, s9, s10
	s_mul_i32 s6, s5, s7
	s_add_co_ci_u32 s7, s12, 0
	s_delay_alu instid0(SALU_CYCLE_1) | instskip(NEXT) | instid1(SALU_CYCLE_1)
	s_add_nc_u64 s[6:7], s[2:3], s[6:7]
	v_add_co_u32 v0, s2, s4, s6
	s_delay_alu instid0(VALU_DEP_1) | instskip(SKIP_1) | instid1(VALU_DEP_1)
	s_cmp_lg_u32 s2, 0
	s_add_co_ci_u32 s8, s5, s7
	v_readfirstlane_b32 s9, v0
	s_wait_kmcnt 0x0
	s_add_nc_u64 s[4:5], s[26:27], -1
	s_wait_alu 0xfffe
	s_mul_hi_u32 s7, s4, s8
	s_mul_i32 s6, s4, s8
	s_mul_hi_u32 s2, s4, s9
	s_mul_hi_u32 s11, s5, s9
	s_mul_i32 s9, s5, s9
	s_wait_alu 0xfffe
	s_add_nc_u64 s[6:7], s[2:3], s[6:7]
	s_mul_hi_u32 s10, s5, s8
	s_wait_alu 0xfffe
	s_add_co_u32 s2, s6, s9
	s_add_co_ci_u32 s2, s7, s11
	s_mul_i32 s8, s5, s8
	s_add_co_ci_u32 s9, s10, 0
	s_delay_alu instid0(SALU_CYCLE_1) | instskip(SKIP_2) | instid1(SALU_CYCLE_1)
	s_add_nc_u64 s[6:7], s[2:3], s[8:9]
	s_wait_alu 0xfffe
	s_mul_u64 s[8:9], s[6:7], 7
	v_sub_co_u32 v0, s2, s4, s8
	s_delay_alu instid0(VALU_DEP_1) | instskip(SKIP_1) | instid1(VALU_DEP_1)
	s_cmp_lg_u32 s2, 0
	s_sub_co_ci_u32 s10, s5, s9
	v_sub_co_u32 v1, s4, v0, 7
	s_delay_alu instid0(VALU_DEP_1) | instskip(SKIP_2) | instid1(VALU_DEP_2)
	s_cmp_lg_u32 s4, 0
	v_readfirstlane_b32 s11, v0
	s_sub_co_ci_u32 s8, s10, 0
	v_readfirstlane_b32 s2, v1
	s_add_nc_u64 s[4:5], s[6:7], 1
	s_delay_alu instid0(VALU_DEP_1)
	s_cmp_gt_u32 s2, 6
	s_cselect_b32 s2, -1, 0
	s_wait_alu 0xfffe
	s_cmp_eq_u32 s8, 0
	s_add_nc_u64 s[8:9], s[6:7], 2
	s_cselect_b32 s2, s2, -1
	s_delay_alu instid0(SALU_CYCLE_1)
	s_cmp_lg_u32 s2, 0
	s_wait_alu 0xfffe
	s_cselect_b32 s2, s8, s4
	s_cselect_b32 s4, s9, s5
	s_cmp_gt_u32 s11, 6
	s_cselect_b32 s5, -1, 0
	s_cmp_eq_u32 s10, 0
	s_wait_alu 0xfffe
	s_cselect_b32 s5, s5, -1
	s_wait_alu 0xfffe
	s_cmp_lg_u32 s5, 0
	s_cselect_b32 s5, s4, s7
	s_cselect_b32 s4, s2, s6
	s_mov_b32 s2, ttmp9
	s_wait_alu 0xfffe
	s_add_nc_u64 s[30:31], s[4:5], 1
	s_delay_alu instid0(SALU_CYCLE_1) | instskip(NEXT) | instid1(VALU_DEP_1)
	v_cmp_lt_u64_e64 s4, s[2:3], s[30:31]
	s_and_b32 vcc_lo, exec_lo, s4
	s_cbranch_vccnz .LBB0_2
; %bb.1:
	v_cvt_f32_u32_e32 v0, s30
	s_sub_co_i32 s5, 0, s30
	s_mov_b32 s23, s3
	s_delay_alu instid0(VALU_DEP_1) | instskip(NEXT) | instid1(TRANS32_DEP_1)
	v_rcp_iflag_f32_e32 v0, v0
	v_mul_f32_e32 v0, 0x4f7ffffe, v0
	s_delay_alu instid0(VALU_DEP_1) | instskip(NEXT) | instid1(VALU_DEP_1)
	v_cvt_u32_f32_e32 v0, v0
	v_readfirstlane_b32 s4, v0
	s_wait_alu 0xfffe
	s_delay_alu instid0(VALU_DEP_1)
	s_mul_i32 s5, s5, s4
	s_wait_alu 0xfffe
	s_mul_hi_u32 s5, s4, s5
	s_wait_alu 0xfffe
	s_add_co_i32 s4, s4, s5
	s_wait_alu 0xfffe
	s_mul_hi_u32 s4, s2, s4
	s_wait_alu 0xfffe
	s_mul_i32 s5, s4, s30
	s_add_co_i32 s6, s4, 1
	s_wait_alu 0xfffe
	s_sub_co_i32 s5, s2, s5
	s_wait_alu 0xfffe
	s_sub_co_i32 s7, s5, s30
	s_cmp_ge_u32 s5, s30
	s_cselect_b32 s4, s6, s4
	s_wait_alu 0xfffe
	s_cselect_b32 s5, s7, s5
	s_add_co_i32 s6, s4, 1
	s_wait_alu 0xfffe
	s_cmp_ge_u32 s5, s30
	s_cselect_b32 s22, s6, s4
.LBB0_2:
	s_load_b128 s[8:11], s[0:1], 0x8
	s_load_b128 s[12:15], s[18:19], 0x0
	;; [unrolled: 1-line block ×3, first 2 shown]
	s_load_b64 s[62:63], s[0:1], 0x0
	s_mul_u64 s[20:21], s[22:23], s[30:31]
	s_delay_alu instid0(SALU_CYCLE_1) | instskip(NEXT) | instid1(SALU_CYCLE_1)
	s_sub_nc_u64 s[20:21], s[2:3], s[20:21]
	s_mul_u64 s[34:35], s[20:21], 7
	s_wait_kmcnt 0x0
	v_cmp_lt_u64_e64 s33, s[10:11], 3
	s_mul_u64 s[28:29], s[14:15], s[34:35]
	s_mul_u64 s[20:21], s[6:7], s[34:35]
	s_delay_alu instid0(VALU_DEP_1)
	s_and_b32 vcc_lo, exec_lo, s33
	s_cbranch_vccnz .LBB0_12
; %bb.3:
	s_add_nc_u64 s[36:37], s[24:25], 16
	s_add_nc_u64 s[38:39], s[18:19], 16
	;; [unrolled: 1-line block ×3, first 2 shown]
	s_mov_b64 s[40:41], 2
	s_mov_b32 s42, 0
.LBB0_4:                                ; =>This Inner Loop Header: Depth=1
	s_load_b64 s[44:45], s[16:17], 0x0
                                        ; implicit-def: $sgpr48_sgpr49
	s_wait_kmcnt 0x0
	s_or_b64 s[46:47], s[22:23], s[44:45]
	s_delay_alu instid0(SALU_CYCLE_1)
	s_mov_b32 s43, s47
	s_mov_b32 s47, -1
	s_cmp_lg_u64 s[42:43], 0
	s_cbranch_scc0 .LBB0_6
; %bb.5:                                ;   in Loop: Header=BB0_4 Depth=1
	s_cvt_f32_u32 s33, s44
	s_cvt_f32_u32 s43, s45
	s_sub_nc_u64 s[50:51], 0, s[44:45]
	s_mov_b32 s47, 0
	s_mov_b32 s55, s42
	s_wait_alu 0xfffe
	s_fmamk_f32 s33, s43, 0x4f800000, s33
	s_wait_alu 0xfffe
	s_delay_alu instid0(SALU_CYCLE_2) | instskip(NEXT) | instid1(TRANS32_DEP_1)
	v_s_rcp_f32 s33, s33
	s_mul_f32 s33, s33, 0x5f7ffffc
	s_wait_alu 0xfffe
	s_delay_alu instid0(SALU_CYCLE_2) | instskip(NEXT) | instid1(SALU_CYCLE_3)
	s_mul_f32 s43, s33, 0x2f800000
	s_trunc_f32 s43, s43
	s_delay_alu instid0(SALU_CYCLE_3) | instskip(SKIP_2) | instid1(SALU_CYCLE_1)
	s_fmamk_f32 s33, s43, 0xcf800000, s33
	s_cvt_u32_f32 s49, s43
	s_wait_alu 0xfffe
	s_cvt_u32_f32 s48, s33
	s_wait_alu 0xfffe
	s_delay_alu instid0(SALU_CYCLE_2)
	s_mul_u64 s[52:53], s[50:51], s[48:49]
	s_wait_alu 0xfffe
	s_mul_hi_u32 s57, s48, s53
	s_mul_i32 s56, s48, s53
	s_mul_hi_u32 s46, s48, s52
	s_mul_i32 s43, s49, s52
	s_add_nc_u64 s[56:57], s[46:47], s[56:57]
	s_mul_hi_u32 s33, s49, s52
	s_mul_hi_u32 s58, s49, s53
	s_add_co_u32 s43, s56, s43
	s_wait_alu 0xfffe
	s_add_co_ci_u32 s54, s57, s33
	s_mul_i32 s52, s49, s53
	s_add_co_ci_u32 s53, s58, 0
	s_wait_alu 0xfffe
	s_add_nc_u64 s[52:53], s[54:55], s[52:53]
	s_wait_alu 0xfffe
	v_add_co_u32 v0, s33, s48, s52
	s_delay_alu instid0(VALU_DEP_1) | instskip(SKIP_1) | instid1(VALU_DEP_1)
	s_cmp_lg_u32 s33, 0
	s_add_co_ci_u32 s49, s49, s53
	v_readfirstlane_b32 s48, v0
	s_mov_b32 s53, s42
	s_wait_alu 0xfffe
	s_delay_alu instid0(VALU_DEP_1)
	s_mul_u64 s[50:51], s[50:51], s[48:49]
	s_wait_alu 0xfffe
	s_mul_hi_u32 s55, s48, s51
	s_mul_i32 s54, s48, s51
	s_mul_hi_u32 s46, s48, s50
	s_mul_i32 s43, s49, s50
	s_add_nc_u64 s[54:55], s[46:47], s[54:55]
	s_mul_hi_u32 s33, s49, s50
	s_mul_hi_u32 s48, s49, s51
	s_add_co_u32 s43, s54, s43
	s_wait_alu 0xfffe
	s_add_co_ci_u32 s52, s55, s33
	s_mul_i32 s50, s49, s51
	s_add_co_ci_u32 s51, s48, 0
	s_wait_alu 0xfffe
	s_add_nc_u64 s[50:51], s[52:53], s[50:51]
	s_wait_alu 0xfffe
	v_add_co_u32 v0, s33, v0, s50
	s_delay_alu instid0(VALU_DEP_1) | instskip(SKIP_1) | instid1(VALU_DEP_1)
	s_cmp_lg_u32 s33, 0
	s_add_co_ci_u32 s33, s49, s51
	v_readfirstlane_b32 s43, v0
	s_wait_alu 0xfffe
	s_mul_hi_u32 s49, s22, s33
	s_mul_i32 s48, s22, s33
	s_mul_hi_u32 s51, s23, s33
	s_mul_i32 s50, s23, s33
	;; [unrolled: 2-line block ×3, first 2 shown]
	s_wait_alu 0xfffe
	s_add_nc_u64 s[48:49], s[46:47], s[48:49]
	s_mul_hi_u32 s43, s23, s43
	s_wait_alu 0xfffe
	s_add_co_u32 s33, s48, s33
	s_add_co_ci_u32 s52, s49, s43
	s_add_co_ci_u32 s51, s51, 0
	s_wait_alu 0xfffe
	s_add_nc_u64 s[48:49], s[52:53], s[50:51]
	s_wait_alu 0xfffe
	s_mul_u64 s[50:51], s[44:45], s[48:49]
	s_add_nc_u64 s[52:53], s[48:49], 1
	s_wait_alu 0xfffe
	v_sub_co_u32 v0, s33, s22, s50
	s_sub_co_i32 s43, s23, s51
	s_cmp_lg_u32 s33, 0
	s_add_nc_u64 s[54:55], s[48:49], 2
	s_delay_alu instid0(VALU_DEP_1) | instskip(SKIP_2) | instid1(VALU_DEP_1)
	v_sub_co_u32 v1, s46, v0, s44
	s_sub_co_ci_u32 s43, s43, s45
	s_cmp_lg_u32 s46, 0
	v_readfirstlane_b32 s46, v1
	s_sub_co_ci_u32 s43, s43, 0
	s_delay_alu instid0(SALU_CYCLE_1) | instskip(SKIP_1) | instid1(VALU_DEP_1)
	s_cmp_ge_u32 s43, s45
	s_cselect_b32 s50, -1, 0
	s_cmp_ge_u32 s46, s44
	s_cselect_b32 s46, -1, 0
	s_cmp_eq_u32 s43, s45
	s_wait_alu 0xfffe
	s_cselect_b32 s43, s46, s50
	s_delay_alu instid0(SALU_CYCLE_1)
	s_cmp_lg_u32 s43, 0
	s_cselect_b32 s43, s54, s52
	s_cselect_b32 s46, s55, s53
	s_cmp_lg_u32 s33, 0
	v_readfirstlane_b32 s33, v0
	s_sub_co_ci_u32 s50, s23, s51
	s_wait_alu 0xfffe
	s_cmp_ge_u32 s50, s45
	s_cselect_b32 s51, -1, 0
	s_cmp_ge_u32 s33, s44
	s_cselect_b32 s33, -1, 0
	s_cmp_eq_u32 s50, s45
	s_wait_alu 0xfffe
	s_cselect_b32 s33, s33, s51
	s_wait_alu 0xfffe
	s_cmp_lg_u32 s33, 0
	s_cselect_b32 s49, s46, s49
	s_cselect_b32 s48, s43, s48
.LBB0_6:                                ;   in Loop: Header=BB0_4 Depth=1
	s_and_not1_b32 vcc_lo, exec_lo, s47
	s_cbranch_vccnz .LBB0_8
; %bb.7:                                ;   in Loop: Header=BB0_4 Depth=1
	v_cvt_f32_u32_e32 v0, s44
	s_sub_co_i32 s43, 0, s44
	s_mov_b32 s49, s42
	s_delay_alu instid0(VALU_DEP_1) | instskip(NEXT) | instid1(TRANS32_DEP_1)
	v_rcp_iflag_f32_e32 v0, v0
	v_mul_f32_e32 v0, 0x4f7ffffe, v0
	s_delay_alu instid0(VALU_DEP_1) | instskip(NEXT) | instid1(VALU_DEP_1)
	v_cvt_u32_f32_e32 v0, v0
	v_readfirstlane_b32 s33, v0
	s_delay_alu instid0(VALU_DEP_1) | instskip(NEXT) | instid1(SALU_CYCLE_1)
	s_mul_i32 s43, s43, s33
	s_mul_hi_u32 s43, s33, s43
	s_delay_alu instid0(SALU_CYCLE_1)
	s_add_co_i32 s33, s33, s43
	s_wait_alu 0xfffe
	s_mul_hi_u32 s33, s22, s33
	s_wait_alu 0xfffe
	s_mul_i32 s43, s33, s44
	s_add_co_i32 s46, s33, 1
	s_sub_co_i32 s43, s22, s43
	s_delay_alu instid0(SALU_CYCLE_1)
	s_sub_co_i32 s47, s43, s44
	s_cmp_ge_u32 s43, s44
	s_cselect_b32 s33, s46, s33
	s_cselect_b32 s43, s47, s43
	s_wait_alu 0xfffe
	s_add_co_i32 s46, s33, 1
	s_cmp_ge_u32 s43, s44
	s_cselect_b32 s48, s46, s33
.LBB0_8:                                ;   in Loop: Header=BB0_4 Depth=1
	s_load_b64 s[46:47], s[38:39], 0x0
	s_load_b64 s[50:51], s[36:37], 0x0
	s_add_nc_u64 s[40:41], s[40:41], 1
	s_mul_u64 s[30:31], s[44:45], s[30:31]
	s_wait_alu 0xfffe
	v_cmp_ge_u64_e64 s33, s[40:41], s[10:11]
	s_mul_u64 s[44:45], s[48:49], s[44:45]
	s_add_nc_u64 s[36:37], s[36:37], 8
	s_wait_alu 0xfffe
	s_sub_nc_u64 s[22:23], s[22:23], s[44:45]
	s_add_nc_u64 s[38:39], s[38:39], 8
	s_add_nc_u64 s[16:17], s[16:17], 8
	s_and_b32 vcc_lo, exec_lo, s33
	s_wait_kmcnt 0x0
	s_wait_alu 0xfffe
	s_mul_u64 s[44:45], s[46:47], s[22:23]
	s_mul_u64 s[22:23], s[50:51], s[22:23]
	s_wait_alu 0xfffe
	s_add_nc_u64 s[28:29], s[44:45], s[28:29]
	s_add_nc_u64 s[20:21], s[22:23], s[20:21]
	s_cbranch_vccnz .LBB0_10
; %bb.9:                                ;   in Loop: Header=BB0_4 Depth=1
	s_mov_b64 s[22:23], s[48:49]
	s_branch .LBB0_4
.LBB0_10:
	v_cmp_lt_u64_e64 s3, s[2:3], s[30:31]
	s_mov_b64 s[22:23], 0
	s_delay_alu instid0(VALU_DEP_1)
	s_and_b32 vcc_lo, exec_lo, s3
	s_cbranch_vccnz .LBB0_12
; %bb.11:
	v_cvt_f32_u32_e32 v0, s30
	s_sub_co_i32 s16, 0, s30
	s_mov_b32 s23, 0
	s_delay_alu instid0(VALU_DEP_1) | instskip(NEXT) | instid1(TRANS32_DEP_1)
	v_rcp_iflag_f32_e32 v0, v0
	v_mul_f32_e32 v0, 0x4f7ffffe, v0
	s_delay_alu instid0(VALU_DEP_1) | instskip(NEXT) | instid1(VALU_DEP_1)
	v_cvt_u32_f32_e32 v0, v0
	v_readfirstlane_b32 s3, v0
	s_delay_alu instid0(VALU_DEP_1) | instskip(NEXT) | instid1(SALU_CYCLE_1)
	s_mul_i32 s16, s16, s3
	s_mul_hi_u32 s16, s3, s16
	s_delay_alu instid0(SALU_CYCLE_1) | instskip(SKIP_4) | instid1(SALU_CYCLE_1)
	s_add_co_i32 s3, s3, s16
	s_wait_alu 0xfffe
	s_mul_hi_u32 s3, s2, s3
	s_wait_alu 0xfffe
	s_mul_i32 s16, s3, s30
	s_sub_co_i32 s2, s2, s16
	s_add_co_i32 s16, s3, 1
	s_wait_alu 0xfffe
	s_sub_co_i32 s17, s2, s30
	s_cmp_ge_u32 s2, s30
	s_cselect_b32 s3, s16, s3
	s_cselect_b32 s2, s17, s2
	s_wait_alu 0xfffe
	s_add_co_i32 s16, s3, 1
	s_cmp_ge_u32 s2, s30
	s_cselect_b32 s22, s16, s3
.LBB0_12:
	v_mul_u32_u24_e32 v0, 0x2493, v255
	s_load_b128 s[0:3], s[0:1], 0x60
	s_lshl_b64 s[10:11], s[10:11], 3
                                        ; kill: def $vgpr1_vgpr2 killed $sgpr0_sgpr1 killed $exec
                                        ; implicit-def: $vgpr43_vgpr44
                                        ; implicit-def: $vgpr47_vgpr48
                                        ; implicit-def: $vgpr55_vgpr56
                                        ; implicit-def: $vgpr63_vgpr64
                                        ; implicit-def: $vgpr67_vgpr68
                                        ; implicit-def: $vgpr51_vgpr52
                                        ; implicit-def: $vgpr59_vgpr60
                                        ; implicit-def: $vgpr35_vgpr36
                                        ; implicit-def: $vgpr39_vgpr40
                                        ; implicit-def: $vgpr31_vgpr32
                                        ; implicit-def: $vgpr27_vgpr28
                                        ; implicit-def: $vgpr23_vgpr24
                                        ; implicit-def: $vgpr19_vgpr20
                                        ; implicit-def: $vgpr15_vgpr16
                                        ; implicit-def: $vgpr11_vgpr12
                                        ; implicit-def: $vgpr7_vgpr8
                                        ; implicit-def: $vgpr3_vgpr4
	s_wait_alu 0xfffe
	s_add_nc_u64 s[64:65], s[24:25], s[10:11]
	v_lshrrev_b32_e32 v190, 16, v0
	s_delay_alu instid0(VALU_DEP_1) | instskip(NEXT) | instid1(VALU_DEP_1)
	v_mul_lo_u16 v0, v190, 7
	v_sub_nc_u16 v0, v255, v0
	s_delay_alu instid0(VALU_DEP_1) | instskip(NEXT) | instid1(VALU_DEP_1)
	v_and_b32_e32 v0, 0xffff, v0
	v_add_co_u32 v69, s16, s34, v0
	s_delay_alu instid0(VALU_DEP_1)
	v_add_co_ci_u32_e64 v70, null, s35, 0, s16
	s_add_nc_u64 s[16:17], s[34:35], 7
	scratch_store_b32 off, v0, off          ; 4-byte Folded Spill
	s_wait_alu 0xfffe
	v_cmp_le_u64_e64 s16, s[16:17], s[26:27]
	v_cmp_gt_u64_e32 vcc_lo, s[26:27], v[69:70]
	s_delay_alu instid0(VALU_DEP_2)
	s_or_b32 s33, s16, vcc_lo
	s_wait_alu 0xfffe
	s_and_saveexec_b32 s16, s33
	s_cbranch_execz .LBB0_14
; %bb.13:
	scratch_load_b32 v5, off, off           ; 4-byte Folded Reload
	s_add_nc_u64 s[10:11], s[18:19], s[10:11]
	v_mad_co_u64_u32 v[3:4], null, s12, v190, 0
	s_load_b64 s[10:11], s[10:11], 0x0
	v_add_nc_u32_e32 v0, 17, v190
	v_add_nc_u32_e32 v51, 0xee, v190
	;; [unrolled: 1-line block ×6, first 2 shown]
	v_mad_co_u64_u32 v[53:54], null, s12, v51, 0
	v_add_nc_u32_e32 v50, 0xdd, v190
	s_delay_alu instid0(VALU_DEP_4)
	v_mad_co_u64_u32 v[25:26], null, s12, v20, 0
	v_add_nc_u32_e32 v24, 0x77, v190
	v_mad_co_u64_u32 v[55:56], null, s12, v66, 0
	v_mov_b32_e32 v49, v54
	v_mad_co_u64_u32 v[33:34], null, s12, v30, 0
	v_add_nc_u32_e32 v39, 0x99, v190
	v_add_nc_u32_e32 v47, 0xcc, v190
	s_wait_kmcnt 0x0
	s_mul_u64 s[10:11], s[10:11], s[22:23]
	s_wait_alu 0xfffe
	s_lshl_b64 s[10:11], s[10:11], 4
	v_mad_co_u64_u32 v[35:36], null, s12, v39, 0
	s_wait_alu 0xfffe
	s_add_nc_u64 s[0:1], s[0:1], s[10:11]
	s_wait_loadcnt 0x0
	v_mad_co_u64_u32 v[1:2], null, s14, v5, 0
	s_delay_alu instid0(VALU_DEP_1)
	v_mad_co_u64_u32 v[5:6], null, s15, v5, v[2:3]
	v_mad_co_u64_u32 v[6:7], null, s12, v0, 0
	v_add_nc_u32_e32 v13, 34, v190
	s_lshl_b64 s[14:15], s[28:29], 4
	s_wait_alu 0xfffe
	s_add_nc_u64 s[0:1], s[0:1], s[14:15]
	s_delay_alu instid0(VALU_DEP_3) | instskip(SKIP_3) | instid1(VALU_DEP_4)
	v_mov_b32_e32 v2, v5
	v_mad_co_u64_u32 v[8:9], null, s13, v190, v[4:5]
	v_add_nc_u32_e32 v15, 51, v190
	v_mov_b32_e32 v5, v7
	v_lshlrev_b64_e32 v[1:2], 4, v[1:2]
	v_mad_co_u64_u32 v[9:10], null, s12, v13, 0
	v_mov_b32_e32 v4, v8
	s_delay_alu instid0(VALU_DEP_4) | instskip(NEXT) | instid1(VALU_DEP_4)
	v_mad_co_u64_u32 v[7:8], null, s13, v0, v[5:6]
	v_add_co_u32 v0, vcc_lo, s0, v1
	s_delay_alu instid0(VALU_DEP_3) | instskip(SKIP_2) | instid1(VALU_DEP_3)
	v_lshlrev_b64_e32 v[3:4], 4, v[3:4]
	v_add_co_ci_u32_e32 v65, vcc_lo, s1, v2, vcc_lo
	v_mad_co_u64_u32 v[11:12], null, s12, v15, 0
	v_add_co_u32 v1, vcc_lo, v0, v3
	s_wait_alu 0xfffd
	s_delay_alu instid0(VALU_DEP_3) | instskip(SKIP_2) | instid1(VALU_DEP_1)
	v_add_co_ci_u32_e32 v2, vcc_lo, v65, v4, vcc_lo
	v_lshlrev_b64_e32 v[4:5], 4, v[6:7]
	v_mov_b32_e32 v3, v10
	v_mad_co_u64_u32 v[6:7], null, s13, v13, v[3:4]
	v_mov_b32_e32 v3, v12
	v_mad_co_u64_u32 v[13:14], null, s12, v18, 0
	v_add_co_u32 v7, vcc_lo, v0, v4
	s_wait_alu 0xfffd
	v_add_co_ci_u32_e32 v8, vcc_lo, v65, v5, vcc_lo
	v_mov_b32_e32 v10, v6
	v_mad_co_u64_u32 v[15:16], null, s13, v15, v[3:4]
	v_add_nc_u32_e32 v19, 0x55, v190
	s_clause 0x1
	global_load_b128 v[1:4], v[1:2], off
	global_load_b128 v[5:8], v[7:8], off
	v_lshlrev_b64_e32 v[9:10], 4, v[9:10]
	v_mov_b32_e32 v12, v15
	v_mad_co_u64_u32 v[16:17], null, s12, v19, 0
	v_mad_co_u64_u32 v[14:15], null, s13, v18, v[14:15]
	s_delay_alu instid0(VALU_DEP_3) | instskip(SKIP_4) | instid1(VALU_DEP_1)
	v_lshlrev_b64_e32 v[11:12], 4, v[11:12]
	v_add_co_u32 v9, vcc_lo, v0, v9
	s_wait_alu 0xfffd
	v_add_co_ci_u32_e32 v10, vcc_lo, v65, v10, vcc_lo
	v_mov_b32_e32 v15, v17
	v_mad_co_u64_u32 v[17:18], null, s13, v19, v[15:16]
	v_add_co_u32 v18, vcc_lo, v0, v11
	s_wait_alu 0xfffd
	v_add_co_ci_u32_e32 v19, vcc_lo, v65, v12, vcc_lo
	v_lshlrev_b64_e32 v[11:12], 4, v[13:14]
	v_mov_b32_e32 v13, v26
	v_mad_co_u64_u32 v[27:28], null, s12, v24, 0
	v_lshlrev_b64_e32 v[14:15], 4, v[16:17]
	s_delay_alu instid0(VALU_DEP_1) | instskip(SKIP_1) | instid1(VALU_DEP_4)
	v_mad_co_u64_u32 v[16:17], null, s13, v20, v[13:14]
	v_add_co_u32 v20, vcc_lo, v0, v11
	v_mov_b32_e32 v11, v28
	s_wait_alu 0xfffd
	v_add_co_ci_u32_e32 v21, vcc_lo, v65, v12, vcc_lo
	v_add_co_u32 v22, vcc_lo, v0, v14
	v_mov_b32_e32 v26, v16
	v_mad_co_u64_u32 v[28:29], null, s13, v24, v[11:12]
	v_mov_b32_e32 v29, v34
	s_wait_alu 0xfffd
	v_add_co_ci_u32_e32 v23, vcc_lo, v65, v15, vcc_lo
	v_lshlrev_b64_e32 v[25:26], 4, v[25:26]
	s_clause 0x3
	global_load_b128 v[9:12], v[9:10], off
	global_load_b128 v[13:16], v[18:19], off
	;; [unrolled: 1-line block ×4, first 2 shown]
	v_mad_co_u64_u32 v[29:30], null, s13, v30, v[29:30]
	v_dual_mov_b32 v30, v36 :: v_dual_add_nc_u32 v43, 0xaa, v190
	v_lshlrev_b64_e32 v[27:28], 4, v[27:28]
	v_add_co_u32 v25, vcc_lo, v0, v25
	s_wait_alu 0xfffd
	v_add_co_ci_u32_e32 v26, vcc_lo, v65, v26, vcc_lo
	v_mov_b32_e32 v34, v29
	v_mad_co_u64_u32 v[37:38], null, s12, v43, 0
	v_add_co_u32 v31, vcc_lo, v0, v27
	v_add_nc_u32_e32 v45, 0xbb, v190
	s_delay_alu instid0(VALU_DEP_4)
	v_lshlrev_b64_e32 v[33:34], 4, v[33:34]
	s_wait_alu 0xfffd
	v_add_co_ci_u32_e32 v32, vcc_lo, v65, v28, vcc_lo
	v_mov_b32_e32 v36, v38
	v_mad_co_u64_u32 v[39:40], null, s13, v39, v[30:31]
	v_mad_co_u64_u32 v[41:42], null, s12, v45, 0
	s_delay_alu instid0(VALU_DEP_3) | instskip(SKIP_1) | instid1(VALU_DEP_4)
	v_mad_co_u64_u32 v[43:44], null, s13, v43, v[36:37]
	v_add_co_u32 v33, vcc_lo, v0, v33
	v_mov_b32_e32 v36, v39
	s_wait_alu 0xfffd
	v_add_co_ci_u32_e32 v34, vcc_lo, v65, v34, vcc_lo
	s_delay_alu instid0(VALU_DEP_4) | instskip(NEXT) | instid1(VALU_DEP_3)
	v_dual_mov_b32 v39, v42 :: v_dual_mov_b32 v38, v43
	v_lshlrev_b64_e32 v[35:36], 4, v[35:36]
	s_clause 0x1
	global_load_b128 v[25:28], v[25:26], off
	global_load_b128 v[29:32], v[31:32], off
	v_mad_co_u64_u32 v[42:43], null, s13, v45, v[39:40]
	v_mad_co_u64_u32 v[45:46], null, s12, v47, 0
	v_lshlrev_b64_e32 v[43:44], 4, v[37:38]
	v_add_co_u32 v35, vcc_lo, v0, v35
	s_wait_alu 0xfffd
	v_add_co_ci_u32_e32 v36, vcc_lo, v65, v36, vcc_lo
	v_lshlrev_b64_e32 v[41:42], 4, v[41:42]
	v_mad_co_u64_u32 v[46:47], null, s13, v47, v[46:47]
	v_mad_co_u64_u32 v[47:48], null, s12, v50, 0
	v_add_co_u32 v43, vcc_lo, v0, v43
	s_wait_alu 0xfffd
	v_add_co_ci_u32_e32 v44, vcc_lo, v65, v44, vcc_lo
	v_add_co_u32 v41, vcc_lo, v0, v41
	s_delay_alu instid0(VALU_DEP_4)
	v_mad_co_u64_u32 v[61:62], null, s13, v50, v[48:49]
	s_wait_alu 0xfffd
	v_add_co_ci_u32_e32 v42, vcc_lo, v65, v42, vcc_lo
	s_clause 0x1
	global_load_b128 v[37:40], v[33:34], off
	global_load_b128 v[33:36], v[35:36], off
	v_mov_b32_e32 v48, v61
	v_mad_co_u64_u32 v[62:63], null, s13, v51, v[49:50]
	v_add_nc_u32_e32 v67, 0x110, v190
	s_clause 0x1
	global_load_b128 v[57:60], v[43:44], off
	global_load_b128 v[49:52], v[41:42], off
	v_lshlrev_b64_e32 v[42:43], 4, v[45:46]
	v_dual_mov_b32 v41, v56 :: v_dual_mov_b32 v54, v62
	v_mad_co_u64_u32 v[63:64], null, s12, v67, 0
	s_delay_alu instid0(VALU_DEP_2)
	v_mad_co_u64_u32 v[44:45], null, s13, v66, v[41:42]
	v_add_co_u32 v42, vcc_lo, v0, v42
	v_lshlrev_b64_e32 v[45:46], 4, v[47:48]
	v_lshlrev_b64_e32 v[53:54], 4, v[53:54]
	v_mov_b32_e32 v41, v64
	s_wait_alu 0xfffd
	v_add_co_ci_u32_e32 v43, vcc_lo, v65, v43, vcc_lo
	v_mov_b32_e32 v56, v44
	v_add_co_u32 v44, vcc_lo, v0, v45
	v_mad_co_u64_u32 v[47:48], null, s13, v67, v[41:42]
	s_wait_alu 0xfffd
	v_add_co_ci_u32_e32 v45, vcc_lo, v65, v46, vcc_lo
	v_lshlrev_b64_e32 v[55:56], 4, v[55:56]
	v_add_co_u32 v46, vcc_lo, v0, v53
	s_delay_alu instid0(VALU_DEP_4) | instskip(SKIP_2) | instid1(VALU_DEP_4)
	v_mov_b32_e32 v64, v47
	s_wait_alu 0xfffd
	v_add_co_ci_u32_e32 v47, vcc_lo, v65, v54, vcc_lo
	v_add_co_u32 v70, vcc_lo, v0, v55
	s_delay_alu instid0(VALU_DEP_3) | instskip(SKIP_2) | instid1(VALU_DEP_2)
	v_lshlrev_b64_e32 v[53:54], 4, v[63:64]
	s_wait_alu 0xfffd
	v_add_co_ci_u32_e32 v71, vcc_lo, v65, v56, vcc_lo
	v_add_co_u32 v72, vcc_lo, v0, v53
	s_wait_alu 0xfffd
	s_delay_alu instid0(VALU_DEP_3)
	v_add_co_ci_u32_e32 v73, vcc_lo, v65, v54, vcc_lo
	s_clause 0x4
	global_load_b128 v[65:68], v[42:43], off
	global_load_b128 v[61:64], v[44:45], off
	;; [unrolled: 1-line block ×5, first 2 shown]
.LBB0_14:
	s_wait_alu 0xfffe
	s_or_b32 exec_lo, exec_lo, s16
	s_wait_loadcnt 0xf
	v_add_f64_e32 v[70:71], v[5:6], v[1:2]
	v_add_f64_e32 v[72:73], v[7:8], v[3:4]
	s_wait_loadcnt 0x7
	v_add_f64_e32 v[132:133], v[33:34], v[37:38]
	v_add_f64_e64 v[130:131], v[37:38], -v[33:34]
	s_wait_loadcnt 0x6
	v_add_f64_e32 v[136:137], v[57:58], v[29:30]
	v_add_f64_e64 v[134:135], v[29:30], -v[57:58]
	s_wait_loadcnt 0x5
	v_add_f64_e32 v[140:141], v[49:50], v[25:26]
	v_add_f64_e64 v[138:139], v[25:26], -v[49:50]
	s_wait_loadcnt 0x4
	v_add_f64_e32 v[144:145], v[65:66], v[21:22]
	v_add_f64_e64 v[142:143], v[21:22], -v[65:66]
	s_wait_loadcnt 0x3
	v_add_f64_e32 v[154:155], v[61:62], v[17:18]
	v_add_f64_e64 v[150:151], v[17:18], -v[61:62]
	s_wait_loadcnt 0x2
	v_add_f64_e32 v[176:177], v[53:54], v[13:14]
	v_add_f64_e64 v[174:175], v[13:14], -v[53:54]
	s_wait_loadcnt 0x1
	v_add_f64_e32 v[182:183], v[45:46], v[9:10]
	v_add_f64_e64 v[180:181], v[9:10], -v[45:46]
	s_mov_b32 s18, 0x370991
	s_mov_b32 s24, 0x75d4884
	;; [unrolled: 1-line block ×7, first 2 shown]
	s_wait_kmcnt 0x0
	s_mov_b32 s0, 0x7faef3
	s_mov_b32 s19, 0x3fedd6d0
	;; [unrolled: 1-line block ×15, first 2 shown]
	v_add_f64_e32 v[70:71], v[9:10], v[70:71]
	v_add_f64_e32 v[72:73], v[11:12], v[72:73]
	s_mov_b32 s52, 0x4363dd80
	s_mov_b32 s56, 0xacd6c6b4
	;; [unrolled: 1-line block ×20, first 2 shown]
	s_wait_alu 0xfffe
	s_mov_b32 s40, s48
	s_mov_b32 s46, s60
	;; [unrolled: 1-line block ×6, first 2 shown]
	v_mul_f64_e32 v[110:111], s[0:1], v[154:155]
	s_wait_alu 0xfffe
	v_mul_f64_e32 v[112:113], s[34:35], v[150:151]
	v_mul_f64_e32 v[114:115], s[10:11], v[144:145]
	;; [unrolled: 1-line block ×9, first 2 shown]
	v_add_f64_e32 v[70:71], v[13:14], v[70:71]
	v_add_f64_e32 v[72:73], v[15:16], v[72:73]
	v_mul_f64_e32 v[146:147], s[12:13], v[182:183]
	v_mul_f64_e32 v[160:161], s[50:51], v[150:151]
	;; [unrolled: 1-line block ×29, first 2 shown]
	v_add_f64_e32 v[70:71], v[17:18], v[70:71]
	v_add_f64_e32 v[72:73], v[19:20], v[72:73]
	s_delay_alu instid0(VALU_DEP_2) | instskip(NEXT) | instid1(VALU_DEP_2)
	v_add_f64_e32 v[70:71], v[21:22], v[70:71]
	v_add_f64_e32 v[72:73], v[23:24], v[72:73]
	s_delay_alu instid0(VALU_DEP_2) | instskip(NEXT) | instid1(VALU_DEP_2)
	;; [unrolled: 3-line block ×3, first 2 shown]
	v_add_f64_e32 v[70:71], v[29:30], v[70:71]
	v_add_f64_e32 v[74:75], v[31:32], v[72:73]
	v_add_f64_e64 v[29:30], v[31:32], -v[59:60]
	s_delay_alu instid0(VALU_DEP_3) | instskip(NEXT) | instid1(VALU_DEP_3)
	v_add_f64_e32 v[72:73], v[37:38], v[70:71]
	v_add_f64_e32 v[74:75], v[39:40], v[74:75]
	;; [unrolled: 1-line block ×3, first 2 shown]
	v_add_f64_e64 v[37:38], v[39:40], -v[35:36]
	s_delay_alu instid0(VALU_DEP_4) | instskip(NEXT) | instid1(VALU_DEP_4)
	v_add_f64_e32 v[39:40], v[33:34], v[72:73]
	v_add_f64_e32 v[35:36], v[35:36], v[74:75]
	;; [unrolled: 1-line block ×4, first 2 shown]
	s_delay_alu instid0(VALU_DEP_4) | instskip(NEXT) | instid1(VALU_DEP_4)
	v_add_f64_e32 v[39:40], v[57:58], v[39:40]
	v_add_f64_e32 v[57:58], v[59:60], v[35:36]
	v_add_f64_e64 v[35:36], v[27:28], -v[51:52]
	v_add_f64_e32 v[59:60], v[55:56], v[15:16]
	s_delay_alu instid0(VALU_DEP_4) | instskip(NEXT) | instid1(VALU_DEP_4)
	v_add_f64_e32 v[25:26], v[49:50], v[39:40]
	v_add_f64_e32 v[27:28], v[51:52], v[57:58]
	;; [unrolled: 1-line block ×3, first 2 shown]
	v_add_f64_e64 v[49:50], v[23:24], -v[67:68]
	v_add_f64_e32 v[51:52], v[63:64], v[19:20]
	v_add_f64_e64 v[57:58], v[19:20], -v[63:64]
	v_add_f64_e32 v[21:22], v[65:66], v[25:26]
	v_add_f64_e32 v[23:24], v[67:68], v[27:28]
	s_delay_alu instid0(VALU_DEP_2) | instskip(NEXT) | instid1(VALU_DEP_2)
	v_add_f64_e32 v[17:18], v[61:62], v[21:22]
	v_add_f64_e32 v[19:20], v[63:64], v[23:24]
	v_add_f64_e64 v[61:62], v[15:16], -v[55:56]
	s_delay_alu instid0(VALU_DEP_3) | instskip(NEXT) | instid1(VALU_DEP_3)
	v_add_f64_e32 v[13:14], v[53:54], v[17:18]
	v_add_f64_e32 v[15:16], v[55:56], v[19:20]
	;; [unrolled: 1-line block ×3, first 2 shown]
	v_add_f64_e64 v[55:56], v[11:12], -v[47:48]
	s_wait_loadcnt 0x0
	v_add_f64_e64 v[17:18], v[5:6], -v[41:42]
	v_add_f64_e64 v[19:20], v[7:8], -v[43:44]
	v_add_f64_e32 v[9:10], v[45:46], v[13:14]
	v_add_f64_e32 v[11:12], v[47:48], v[15:16]
	;; [unrolled: 1-line block ×4, first 2 shown]
	v_mul_f64_e32 v[63:64], s[40:41], v[17:18]
	v_mul_f64_e32 v[80:81], s[46:47], v[17:18]
	;; [unrolled: 1-line block ×5, first 2 shown]
	v_add_f64_e32 v[186:187], v[41:42], v[9:10]
	v_add_f64_e32 v[188:189], v[43:44], v[11:12]
	v_mul_f64_e32 v[9:10], s[18:19], v[13:14]
	v_mul_f64_e32 v[11:12], s[24:25], v[13:14]
	;; [unrolled: 1-line block ×8, first 2 shown]
	v_fma_f64 v[98:99], v[15:16], s[28:29], -v[63:64]
	v_fma_f64 v[100:101], v[15:16], s[16:17], v[80:81]
	v_fma_f64 v[80:81], v[15:16], s[16:17], -v[80:81]
	v_fma_f64 v[94:95], v[15:16], s[28:29], v[63:64]
	v_fma_f64 v[102:103], v[15:16], s[14:15], v[82:83]
	v_fma_f64 v[82:83], v[15:16], s[14:15], -v[82:83]
	v_fma_f64 v[104:105], v[15:16], s[12:13], v[84:85]
	v_fma_f64 v[84:85], v[15:16], s[12:13], -v[84:85]
	;; [unrolled: 2-line block ×3, first 2 shown]
	v_fma_f64 v[43:44], v[19:20], s[36:37], v[9:10]
	v_fma_f64 v[9:10], v[19:20], s[26:27], v[9:10]
	;; [unrolled: 1-line block ×16, first 2 shown]
	v_mul_f64_e32 v[19:20], s[26:27], v[17:18]
	v_mul_f64_e32 v[41:42], s[30:31], v[17:18]
	;; [unrolled: 1-line block ×3, first 2 shown]
	v_add_f64_e32 v[152:153], v[3:4], v[94:95]
	v_add_f64_e32 v[191:192], v[3:4], v[100:101]
	;; [unrolled: 1-line block ×7, first 2 shown]
	v_mul_f64_e32 v[84:85], s[42:43], v[138:139]
	v_mul_f64_e32 v[86:87], s[10:11], v[136:137]
	;; [unrolled: 1-line block ×5, first 2 shown]
	v_add_f64_e32 v[5:6], v[1:2], v[9:10]
	v_add_f64_e32 v[9:10], v[1:2], v[45:46]
	;; [unrolled: 1-line block ×7, first 2 shown]
	v_fma_f64 v[27:28], v[61:62], s[30:31], v[251:252]
	v_fma_f64 v[88:89], v[15:16], s[18:19], v[19:20]
	v_fma_f64 v[19:20], v[15:16], s[18:19], -v[19:20]
	v_fma_f64 v[92:93], v[15:16], s[24:25], -v[41:42]
	v_fma_f64 v[90:91], v[15:16], s[24:25], v[41:42]
	v_fma_f64 v[108:109], v[15:16], s[0:1], v[17:18]
	v_fma_f64 v[15:16], v[15:16], s[0:1], -v[17:18]
	v_add_f64_e32 v[17:18], v[1:2], v[43:44]
	scratch_store_b64 off, v[5:6], off offset:4 ; 8-byte Folded Spill
	v_add_f64_e32 v[88:89], v[3:4], v[88:89]
	v_add_f64_e32 v[5:6], v[3:4], v[19:20]
	v_add_f64_e32 v[19:20], v[3:4], v[90:91]
	v_add_f64_e32 v[211:212], v[3:4], v[108:109]
	v_mul_f64_e32 v[90:91], s[0:1], v[132:133]
	v_mul_f64_e32 v[108:109], s[42:43], v[174:175]
	scratch_store_b64 off, v[5:6], off offset:20 ; 8-byte Folded Spill
	v_add_f64_e32 v[5:6], v[1:2], v[11:12]
	scratch_store_b64 off, v[5:6], off offset:52 ; 8-byte Folded Spill
	v_add_f64_e32 v[5:6], v[3:4], v[92:93]
	v_mul_f64_e32 v[92:93], s[34:35], v[130:131]
	scratch_store_b64 off, v[5:6], off offset:36 ; 8-byte Folded Spill
	v_add_f64_e32 v[5:6], v[1:2], v[21:22]
	v_add_f64_e32 v[21:22], v[1:2], v[65:66]
	scratch_store_b64 off, v[5:6], off offset:164 ; 8-byte Folded Spill
	v_add_f64_e32 v[5:6], v[3:4], v[98:99]
	scratch_store_b64 off, v[5:6], off offset:156 ; 8-byte Folded Spill
	v_add_f64_e32 v[5:6], v[1:2], v[23:24]
	v_add_f64_e32 v[23:24], v[1:2], v[67:68]
	v_mul_f64_e32 v[67:68], s[56:57], v[174:175]
	scratch_store_b64 off, v[5:6], off offset:180 ; 8-byte Folded Spill
	v_add_f64_e32 v[5:6], v[3:4], v[80:81]
	scratch_store_b64 off, v[5:6], off offset:172 ; 8-byte Folded Spill
	v_add_f64_e32 v[5:6], v[1:2], v[25:26]
	v_add_f64_e32 v[25:26], v[1:2], v[72:73]
	;; [unrolled: 1-line block ×3, first 2 shown]
	v_fma_f64 v[13:14], v[61:62], s[58:59], v[106:107]
	v_mul_f64_e32 v[72:73], s[14:15], v[154:155]
	scratch_store_b64 off, v[5:6], off offset:196 ; 8-byte Folded Spill
	v_add_f64_e32 v[5:6], v[3:4], v[82:83]
	scratch_store_b64 off, v[0:1], off offset:212 ; 8-byte Folded Spill
	v_add_f64_e32 v[0:1], v[3:4], v[15:16]
	v_mul_f64_e32 v[3:4], s[30:31], v[180:181]
	scratch_store_b64 off, v[5:6], off offset:188 ; 8-byte Folded Spill
	v_mul_f64_e32 v[5:6], s[28:29], v[176:177]
	scratch_store_b64 off, v[0:1], off offset:204 ; 8-byte Folded Spill
	;; [unrolled: 2-line block ×3, first 2 shown]
	v_fma_f64 v[3:4], v[53:54], s[24:25], v[3:4]
	scratch_store_b64 off, v[5:6], off offset:100 ; 8-byte Folded Spill
	v_fma_f64 v[11:12], v[61:62], s[48:49], v[5:6]
	scratch_store_b64 off, v[0:1], off offset:68 ; 8-byte Folded Spill
	v_fma_f64 v[1:2], v[55:56], s[54:55], v[0:1]
	v_mul_f64_e32 v[5:6], s[40:41], v[174:175]
	v_add_f64_e32 v[3:4], v[3:4], v[88:89]
	v_mul_f64_e32 v[88:89], s[38:39], v[134:135]
	s_delay_alu instid0(VALU_DEP_4) | instskip(SKIP_4) | instid1(VALU_DEP_2)
	v_add_f64_e32 v[1:2], v[1:2], v[17:18]
	scratch_store_b64 off, v[5:6], off offset:108 ; 8-byte Folded Spill
	v_add_f64_e32 v[1:2], v[11:12], v[1:2]
	v_fma_f64 v[11:12], v[59:60], s[28:29], v[5:6]
	v_mul_f64_e32 v[5:6], s[16:17], v[154:155]
	v_add_f64_e32 v[3:4], v[11:12], v[3:4]
	scratch_store_b64 off, v[5:6], off offset:116 ; 8-byte Folded Spill
	v_fma_f64 v[11:12], v[57:58], s[60:61], v[5:6]
	v_mul_f64_e32 v[5:6], s[46:47], v[150:151]
	s_delay_alu instid0(VALU_DEP_2) | instskip(SKIP_3) | instid1(VALU_DEP_2)
	v_add_f64_e32 v[1:2], v[11:12], v[1:2]
	scratch_store_b64 off, v[5:6], off offset:124 ; 8-byte Folded Spill
	v_fma_f64 v[11:12], v[51:52], s[16:17], v[5:6]
	v_mul_f64_e32 v[5:6], s[14:15], v[144:145]
	v_add_f64_e32 v[3:4], v[11:12], v[3:4]
	scratch_store_b64 off, v[5:6], off offset:132 ; 8-byte Folded Spill
	v_fma_f64 v[11:12], v[49:50], s[50:51], v[5:6]
	v_mul_f64_e32 v[5:6], s[44:45], v[142:143]
	s_delay_alu instid0(VALU_DEP_2) | instskip(SKIP_3) | instid1(VALU_DEP_2)
	v_add_f64_e32 v[1:2], v[11:12], v[1:2]
	scratch_store_b64 off, v[5:6], off offset:140 ; 8-byte Folded Spill
	v_fma_f64 v[11:12], v[39:40], s[14:15], v[5:6]
	v_mul_f64_e32 v[5:6], s[12:13], v[140:141]
	v_add_f64_e32 v[3:4], v[11:12], v[3:4]
	s_delay_alu instid0(VALU_DEP_2) | instskip(SKIP_4) | instid1(VALU_DEP_1)
	v_fma_f64 v[11:12], v[35:36], s[58:59], v[5:6]
	scratch_store_b64 off, v[5:6], off offset:148 ; 8-byte Folded Spill
	v_mul_f64_e32 v[6:7], s[34:35], v[142:143]
	v_add_f64_e32 v[1:2], v[11:12], v[1:2]
	v_fma_f64 v[11:12], v[31:32], s[12:13], v[84:85]
	v_add_f64_e32 v[3:4], v[11:12], v[3:4]
	v_fma_f64 v[11:12], v[29:30], s[52:53], v[86:87]
	s_delay_alu instid0(VALU_DEP_1) | instskip(SKIP_1) | instid1(VALU_DEP_1)
	v_add_f64_e32 v[1:2], v[11:12], v[1:2]
	v_fma_f64 v[11:12], v[33:34], s[10:11], v[88:89]
	v_add_f64_e32 v[3:4], v[11:12], v[3:4]
	v_fma_f64 v[11:12], v[37:38], s[56:57], v[90:91]
	s_delay_alu instid0(VALU_DEP_1) | instskip(SKIP_2) | instid1(VALU_DEP_2)
	v_add_f64_e32 v[63:64], v[11:12], v[1:2]
	v_fma_f64 v[11:12], v[70:71], s[0:1], v[92:93]
	v_mul_f64_e32 v[0:1], s[40:41], v[150:151]
	v_add_f64_e32 v[65:66], v[11:12], v[3:4]
	v_fma_f64 v[11:12], v[55:56], s[60:61], v[102:103]
	s_delay_alu instid0(VALU_DEP_3) | instskip(SKIP_2) | instid1(VALU_DEP_4)
	v_fma_f64 v[2:3], v[51:52], s[28:29], v[0:1]
	v_mul_f64_e32 v[4:5], s[0:1], v[144:145]
	v_fma_f64 v[0:1], v[51:52], s[28:29], -v[0:1]
	v_add_f64_e32 v[9:10], v[11:12], v[9:10]
	v_fma_f64 v[11:12], v[53:54], s[16:17], v[104:105]
	s_delay_alu instid0(VALU_DEP_2) | instskip(NEXT) | instid1(VALU_DEP_2)
	v_add_f64_e32 v[9:10], v[13:14], v[9:10]
	v_add_f64_e32 v[11:12], v[11:12], v[19:20]
	v_fma_f64 v[13:14], v[59:60], s[12:13], v[108:109]
	v_fma_f64 v[19:20], v[53:54], s[0:1], v[219:220]
	s_delay_alu instid0(VALU_DEP_2) | instskip(SKIP_1) | instid1(VALU_DEP_3)
	v_add_f64_e32 v[11:12], v[13:14], v[11:12]
	v_fma_f64 v[13:14], v[57:58], s[56:57], v[110:111]
	v_add_f64_e32 v[19:20], v[19:20], v[191:192]
	v_mul_f64_e32 v[191:192], s[50:51], v[180:181]
	s_delay_alu instid0(VALU_DEP_3) | instskip(SKIP_1) | instid1(VALU_DEP_1)
	v_add_f64_e32 v[9:10], v[13:14], v[9:10]
	v_fma_f64 v[13:14], v[51:52], s[0:1], v[112:113]
	v_add_f64_e32 v[11:12], v[13:14], v[11:12]
	v_fma_f64 v[13:14], v[49:50], s[38:39], v[114:115]
	s_delay_alu instid0(VALU_DEP_1) | instskip(SKIP_1) | instid1(VALU_DEP_1)
	v_add_f64_e32 v[9:10], v[13:14], v[9:10]
	v_fma_f64 v[13:14], v[39:40], s[10:11], v[116:117]
	v_add_f64_e32 v[11:12], v[13:14], v[11:12]
	v_fma_f64 v[13:14], v[35:36], s[44:45], v[118:119]
	s_delay_alu instid0(VALU_DEP_1) | instskip(SKIP_1) | instid1(VALU_DEP_1)
	v_add_f64_e32 v[9:10], v[13:14], v[9:10]
	v_fma_f64 v[13:14], v[31:32], s[14:15], v[120:121]
	v_add_f64_e32 v[11:12], v[13:14], v[11:12]
	v_fma_f64 v[13:14], v[29:30], s[40:41], v[122:123]
	s_delay_alu instid0(VALU_DEP_1) | instskip(SKIP_1) | instid1(VALU_DEP_1)
	v_add_f64_e32 v[9:10], v[13:14], v[9:10]
	v_fma_f64 v[13:14], v[33:34], s[28:29], v[124:125]
	v_add_f64_e32 v[11:12], v[13:14], v[11:12]
	v_fma_f64 v[13:14], v[37:38], s[26:27], v[126:127]
	s_delay_alu instid0(VALU_DEP_1) | instskip(SKIP_2) | instid1(VALU_DEP_2)
	v_add_f64_e32 v[156:157], v[13:14], v[9:10]
	v_fma_f64 v[13:14], v[70:71], s[18:19], v[128:129]
	v_mul_f64_e32 v[8:9], s[16:17], v[140:141]
	v_add_f64_e32 v[158:159], v[13:14], v[11:12]
	v_fma_f64 v[13:14], v[55:56], s[58:59], v[146:147]
	v_mul_f64_e32 v[10:11], s[60:61], v[138:139]
	s_delay_alu instid0(VALU_DEP_2) | instskip(SKIP_1) | instid1(VALU_DEP_1)
	v_add_f64_e32 v[13:14], v[13:14], v[148:149]
	v_mul_f64_e32 v[148:149], s[42:43], v[180:181]
	v_fma_f64 v[15:16], v[53:54], s[12:13], v[148:149]
	s_delay_alu instid0(VALU_DEP_1) | instskip(SKIP_1) | instid1(VALU_DEP_1)
	v_add_f64_e32 v[15:16], v[15:16], v[152:153]
	v_mul_f64_e32 v[152:153], s[0:1], v[176:177]
	v_fma_f64 v[17:18], v[61:62], s[34:35], v[152:153]
	s_delay_alu instid0(VALU_DEP_1) | instskip(SKIP_1) | instid1(VALU_DEP_1)
	v_add_f64_e32 v[13:14], v[17:18], v[13:14]
	v_fma_f64 v[17:18], v[59:60], s[0:1], v[67:68]
	v_add_f64_e32 v[15:16], v[17:18], v[15:16]
	v_fma_f64 v[17:18], v[57:58], s[44:45], v[72:73]
	s_delay_alu instid0(VALU_DEP_1) | instskip(SKIP_1) | instid1(VALU_DEP_1)
	v_add_f64_e32 v[13:14], v[17:18], v[13:14]
	v_fma_f64 v[17:18], v[51:52], s[14:15], v[160:161]
	v_add_f64_e32 v[15:16], v[17:18], v[15:16]
	v_fma_f64 v[17:18], v[49:50], s[30:31], v[162:163]
	s_delay_alu instid0(VALU_DEP_1) | instskip(SKIP_1) | instid1(VALU_DEP_1)
	v_add_f64_e32 v[13:14], v[17:18], v[13:14]
	v_fma_f64 v[17:18], v[39:40], s[24:25], v[164:165]
	v_add_f64_e32 v[15:16], v[17:18], v[15:16]
	v_fma_f64 v[17:18], v[35:36], s[36:37], v[166:167]
	s_delay_alu instid0(VALU_DEP_1) | instskip(SKIP_1) | instid1(VALU_DEP_1)
	v_add_f64_e32 v[13:14], v[17:18], v[13:14]
	v_fma_f64 v[17:18], v[31:32], s[18:19], v[168:169]
	v_add_f64_e32 v[15:16], v[17:18], v[15:16]
	v_fma_f64 v[17:18], v[29:30], s[60:61], v[170:171]
	s_delay_alu instid0(VALU_DEP_1) | instskip(SKIP_1) | instid1(VALU_DEP_1)
	v_add_f64_e32 v[13:14], v[17:18], v[13:14]
	v_fma_f64 v[17:18], v[33:34], s[16:17], v[172:173]
	v_add_f64_e32 v[15:16], v[17:18], v[15:16]
	v_fma_f64 v[17:18], v[37:38], s[52:53], v[178:179]
	s_delay_alu instid0(VALU_DEP_1) | instskip(SKIP_2) | instid1(VALU_DEP_2)
	v_add_f64_e32 v[45:46], v[17:18], v[13:14]
	v_fma_f64 v[17:18], v[70:71], s[10:11], v[184:185]
	v_mul_f64_e32 v[12:13], s[18:19], v[136:137]
	v_add_f64_e32 v[47:48], v[17:18], v[15:16]
	v_fma_f64 v[17:18], v[55:56], s[56:57], v[217:218]
	s_delay_alu instid0(VALU_DEP_3) | instskip(NEXT) | instid1(VALU_DEP_2)
	v_fma_f64 v[14:15], v[29:30], s[36:37], v[12:13]
	v_add_f64_e32 v[17:18], v[17:18], v[21:22]
	v_fma_f64 v[21:22], v[61:62], s[44:45], v[221:222]
	s_delay_alu instid0(VALU_DEP_1) | instskip(SKIP_1) | instid1(VALU_DEP_1)
	v_add_f64_e32 v[17:18], v[21:22], v[17:18]
	v_fma_f64 v[21:22], v[59:60], s[14:15], v[223:224]
	v_add_f64_e32 v[19:20], v[21:22], v[19:20]
	v_fma_f64 v[21:22], v[57:58], s[26:27], v[225:226]
	s_delay_alu instid0(VALU_DEP_1) | instskip(SKIP_1) | instid1(VALU_DEP_1)
	v_add_f64_e32 v[17:18], v[21:22], v[17:18]
	v_fma_f64 v[21:22], v[51:52], s[18:19], v[227:228]
	v_add_f64_e32 v[19:20], v[21:22], v[19:20]
	v_fma_f64 v[21:22], v[49:50], s[48:49], v[229:230]
	s_delay_alu instid0(VALU_DEP_1) | instskip(SKIP_1) | instid1(VALU_DEP_1)
	v_add_f64_e32 v[17:18], v[21:22], v[17:18]
	v_fma_f64 v[21:22], v[39:40], s[28:29], v[231:232]
	v_add_f64_e32 v[19:20], v[21:22], v[19:20]
	v_fma_f64 v[21:22], v[35:36], s[52:53], v[233:234]
	s_delay_alu instid0(VALU_DEP_1) | instskip(SKIP_1) | instid1(VALU_DEP_1)
	v_add_f64_e32 v[17:18], v[21:22], v[17:18]
	v_fma_f64 v[21:22], v[31:32], s[10:11], v[235:236]
	v_add_f64_e32 v[19:20], v[21:22], v[19:20]
	v_fma_f64 v[21:22], v[29:30], s[42:43], v[237:238]
	s_delay_alu instid0(VALU_DEP_1) | instskip(SKIP_1) | instid1(VALU_DEP_1)
	v_add_f64_e32 v[17:18], v[21:22], v[17:18]
	v_fma_f64 v[21:22], v[33:34], s[12:13], v[239:240]
	v_add_f64_e32 v[19:20], v[21:22], v[19:20]
	v_fma_f64 v[21:22], v[37:38], s[30:31], v[241:242]
	s_delay_alu instid0(VALU_DEP_1) | instskip(SKIP_2) | instid1(VALU_DEP_2)
	v_add_f64_e32 v[41:42], v[21:22], v[17:18]
	v_fma_f64 v[21:22], v[70:71], s[24:25], v[245:246]
	v_mul_f64_e32 v[16:17], s[26:27], v[134:135]
	v_add_f64_e32 v[43:44], v[21:22], v[19:20]
	v_fma_f64 v[21:22], v[55:56], s[38:39], v[247:248]
	s_delay_alu instid0(VALU_DEP_3) | instskip(NEXT) | instid1(VALU_DEP_2)
	v_fma_f64 v[18:19], v[33:34], s[18:19], v[16:17]
	v_add_f64_e32 v[21:22], v[21:22], v[23:24]
	v_fma_f64 v[23:24], v[53:54], s[10:11], v[249:250]
	s_delay_alu instid0(VALU_DEP_2) | instskip(NEXT) | instid1(VALU_DEP_2)
	v_add_f64_e32 v[21:22], v[27:28], v[21:22]
	v_add_f64_e32 v[23:24], v[23:24], v[193:194]
	v_fma_f64 v[27:28], v[59:60], s[24:25], v[253:254]
	v_mul_f64_e32 v[193:194], s[18:19], v[176:177]
	s_delay_alu instid0(VALU_DEP_2) | instskip(SKIP_1) | instid1(VALU_DEP_2)
	v_add_f64_e32 v[23:24], v[27:28], v[23:24]
	v_fma_f64 v[27:28], v[57:58], s[48:49], v[243:244]
	v_add_f64_e32 v[2:3], v[2:3], v[23:24]
	s_delay_alu instid0(VALU_DEP_2) | instskip(SKIP_2) | instid1(VALU_DEP_2)
	v_add_f64_e32 v[21:22], v[27:28], v[21:22]
	v_fma_f64 v[23:24], v[49:50], s[56:57], v[4:5]
	v_fma_f64 v[4:5], v[49:50], s[34:35], v[4:5]
	v_add_f64_e32 v[21:22], v[23:24], v[21:22]
	v_fma_f64 v[23:24], v[39:40], s[0:1], v[6:7]
	s_delay_alu instid0(VALU_DEP_1) | instskip(SKIP_1) | instid1(VALU_DEP_1)
	v_add_f64_e32 v[2:3], v[23:24], v[2:3]
	v_fma_f64 v[23:24], v[35:36], s[46:47], v[8:9]
	v_add_f64_e32 v[21:22], v[23:24], v[21:22]
	v_fma_f64 v[23:24], v[31:32], s[16:17], v[10:11]
	s_delay_alu instid0(VALU_DEP_2) | instskip(NEXT) | instid1(VALU_DEP_2)
	v_add_f64_e32 v[14:15], v[14:15], v[21:22]
	v_add_f64_e32 v[2:3], v[23:24], v[2:3]
	s_delay_alu instid0(VALU_DEP_1) | instskip(SKIP_1) | instid1(VALU_DEP_1)
	v_add_f64_e32 v[2:3], v[18:19], v[2:3]
	v_mul_f64_e32 v[18:19], s[12:13], v[132:133]
	v_fma_f64 v[20:21], v[37:38], s[58:59], v[18:19]
	s_delay_alu instid0(VALU_DEP_1) | instskip(SKIP_1) | instid1(VALU_DEP_1)
	v_add_f64_e32 v[21:22], v[20:21], v[14:15]
	v_mul_f64_e32 v[14:15], s[42:43], v[130:131]
	v_fma_f64 v[23:24], v[70:71], s[12:13], v[14:15]
	;; [unrolled: 4-line block ×3, first 2 shown]
	v_fma_f64 v[2:3], v[55:56], s[50:51], v[2:3]
	s_delay_alu instid0(VALU_DEP_2) | instskip(SKIP_1) | instid1(VALU_DEP_3)
	v_add_f64_e32 v[25:26], v[27:28], v[25:26]
	v_fma_f64 v[27:28], v[53:54], s[14:15], v[191:192]
	v_add_f64_e32 v[2:3], v[2:3], v[197:198]
	s_delay_alu instid0(VALU_DEP_2) | instskip(SKIP_1) | instid1(VALU_DEP_1)
	v_add_f64_e32 v[27:28], v[27:28], v[195:196]
	v_fma_f64 v[195:196], v[61:62], s[36:37], v[193:194]
	v_add_f64_e32 v[25:26], v[195:196], v[25:26]
	v_mul_f64_e32 v[195:196], s[26:27], v[174:175]
	s_delay_alu instid0(VALU_DEP_1) | instskip(NEXT) | instid1(VALU_DEP_1)
	v_fma_f64 v[100:101], v[59:60], s[18:19], v[195:196]
	v_add_f64_e32 v[27:28], v[100:101], v[27:28]
	v_mul_f64_e32 v[100:101], s[10:11], v[154:155]
	s_delay_alu instid0(VALU_DEP_1) | instskip(SKIP_1) | instid1(VALU_DEP_2)
	v_fma_f64 v[98:99], v[57:58], s[52:53], v[100:101]
	v_fma_f64 v[100:101], v[57:58], s[38:39], v[100:101]
	v_add_f64_e32 v[25:26], v[98:99], v[25:26]
	v_mul_f64_e32 v[98:99], s[38:39], v[150:151]
	s_delay_alu instid0(VALU_DEP_1) | instskip(SKIP_1) | instid1(VALU_DEP_2)
	v_fma_f64 v[96:97], v[51:52], s[10:11], v[98:99]
	v_fma_f64 v[98:99], v[51:52], s[10:11], -v[98:99]
	v_add_f64_e32 v[27:28], v[96:97], v[27:28]
	v_mul_f64_e32 v[96:97], s[16:17], v[144:145]
	s_delay_alu instid0(VALU_DEP_1) | instskip(SKIP_1) | instid1(VALU_DEP_2)
	v_fma_f64 v[94:95], v[49:50], s[46:47], v[96:97]
	v_fma_f64 v[96:97], v[49:50], s[60:61], v[96:97]
	v_add_f64_e32 v[25:26], v[94:95], v[25:26]
	v_mul_f64_e32 v[94:95], s[60:61], v[142:143]
	s_delay_alu instid0(VALU_DEP_1) | instskip(SKIP_1) | instid1(VALU_DEP_2)
	v_fma_f64 v[74:75], v[39:40], s[16:17], v[94:95]
	v_fma_f64 v[94:95], v[39:40], s[16:17], -v[94:95]
	v_add_f64_e32 v[27:28], v[74:75], v[27:28]
	v_mul_f64_e32 v[74:75], s[24:25], v[140:141]
	s_delay_alu instid0(VALU_DEP_1) | instskip(SKIP_1) | instid1(VALU_DEP_2)
	v_fma_f64 v[215:216], v[35:36], s[54:55], v[74:75]
	v_fma_f64 v[74:75], v[35:36], s[30:31], v[74:75]
	v_add_f64_e32 v[25:26], v[215:216], v[25:26]
	v_mul_f64_e32 v[215:216], s[30:31], v[138:139]
	s_delay_alu instid0(VALU_DEP_1) | instskip(NEXT) | instid1(VALU_DEP_1)
	v_fma_f64 v[213:214], v[31:32], s[24:25], v[215:216]
	v_add_f64_e32 v[27:28], v[213:214], v[27:28]
	v_mul_f64_e32 v[213:214], s[0:1], v[136:137]
	s_delay_alu instid0(VALU_DEP_1) | instskip(NEXT) | instid1(VALU_DEP_1)
	v_fma_f64 v[76:77], v[29:30], s[56:57], v[213:214]
	v_add_f64_e32 v[25:26], v[76:77], v[25:26]
	v_mul_f64_e32 v[76:77], s[34:35], v[134:135]
	s_delay_alu instid0(VALU_DEP_1) | instskip(SKIP_1) | instid1(VALU_DEP_2)
	v_fma_f64 v[78:79], v[33:34], s[0:1], v[76:77]
	v_fma_f64 v[76:77], v[33:34], s[0:1], -v[76:77]
	v_add_f64_e32 v[27:28], v[78:79], v[27:28]
	v_mul_f64_e32 v[78:79], s[28:29], v[132:133]
	s_delay_alu instid0(VALU_DEP_1) | instskip(NEXT) | instid1(VALU_DEP_1)
	v_fma_f64 v[80:81], v[37:38], s[40:41], v[78:79]
	v_add_f64_e32 v[25:26], v[80:81], v[25:26]
	v_mul_f64_e32 v[80:81], s[48:49], v[130:131]
	s_delay_alu instid0(VALU_DEP_1) | instskip(NEXT) | instid1(VALU_DEP_1)
	v_fma_f64 v[82:83], v[70:71], s[28:29], v[80:81]
	v_add_f64_e32 v[27:28], v[82:83], v[27:28]
	v_fma_f64 v[82:83], v[53:54], s[14:15], -v[191:192]
	v_fma_f64 v[191:192], v[61:62], s[26:27], v[193:194]
	s_delay_alu instid0(VALU_DEP_2) | instskip(NEXT) | instid1(VALU_DEP_2)
	v_add_f64_e32 v[82:83], v[82:83], v[199:200]
	v_add_f64_e32 v[2:3], v[191:192], v[2:3]
	v_fma_f64 v[191:192], v[59:60], s[18:19], -v[195:196]
	v_mul_f64_e32 v[199:200], s[0:1], v[140:141]
	v_mul_f64_e32 v[140:141], s[28:29], v[140:141]
	s_delay_alu instid0(VALU_DEP_4) | instskip(NEXT) | instid1(VALU_DEP_4)
	v_add_f64_e32 v[2:3], v[100:101], v[2:3]
	v_add_f64_e32 v[82:83], v[191:192], v[82:83]
	s_delay_alu instid0(VALU_DEP_2) | instskip(NEXT) | instid1(VALU_DEP_2)
	v_add_f64_e32 v[2:3], v[96:97], v[2:3]
	v_add_f64_e32 v[82:83], v[98:99], v[82:83]
	s_delay_alu instid0(VALU_DEP_2) | instskip(NEXT) | instid1(VALU_DEP_2)
	v_add_f64_e32 v[2:3], v[74:75], v[2:3]
	v_add_f64_e32 v[82:83], v[94:95], v[82:83]
	v_fma_f64 v[74:75], v[31:32], s[24:25], -v[215:216]
	v_mul_f64_e32 v[215:216], s[14:15], v[132:133]
	s_delay_alu instid0(VALU_DEP_2) | instskip(SKIP_3) | instid1(VALU_DEP_4)
	v_add_f64_e32 v[74:75], v[74:75], v[82:83]
	v_fma_f64 v[82:83], v[29:30], s[34:35], v[213:214]
	v_mul_f64_e32 v[213:214], s[54:55], v[134:135]
	v_mul_f64_e32 v[134:135], s[44:45], v[134:135]
	v_add_f64_e32 v[74:75], v[76:77], v[74:75]
	s_delay_alu instid0(VALU_DEP_4) | instskip(SKIP_3) | instid1(VALU_DEP_3)
	v_add_f64_e32 v[2:3], v[82:83], v[2:3]
	v_fma_f64 v[76:77], v[37:38], s[48:49], v[78:79]
	v_fma_f64 v[78:79], v[70:71], s[28:29], -v[80:81]
	v_mul_f64_e32 v[80:81], s[16:17], v[176:177]
	v_add_f64_e32 v[191:192], v[76:77], v[2:3]
	v_mul_f64_e32 v[2:3], s[28:29], v[182:183]
	s_delay_alu instid0(VALU_DEP_4) | instskip(SKIP_2) | instid1(VALU_DEP_4)
	v_add_f64_e32 v[193:194], v[78:79], v[74:75]
	v_mul_f64_e32 v[76:77], s[48:49], v[180:181]
	v_fma_f64 v[82:83], v[61:62], s[60:61], v[80:81]
	v_fma_f64 v[74:75], v[55:56], s[40:41], v[2:3]
	;; [unrolled: 1-line block ×3, first 2 shown]
	s_delay_alu instid0(VALU_DEP_4) | instskip(SKIP_1) | instid1(VALU_DEP_4)
	v_fma_f64 v[78:79], v[53:54], s[28:29], v[76:77]
	v_fma_f64 v[76:77], v[53:54], s[28:29], -v[76:77]
	v_add_f64_e32 v[74:75], v[74:75], v[201:202]
	v_mul_f64_e32 v[201:202], s[34:35], v[138:139]
	s_delay_alu instid0(VALU_DEP_4)
	v_add_f64_e32 v[78:79], v[78:79], v[203:204]
	v_mul_f64_e32 v[203:204], s[24:25], v[136:137]
	v_add_f64_e32 v[2:3], v[2:3], v[205:206]
	v_add_f64_e32 v[76:77], v[76:77], v[207:208]
	v_mul_f64_e32 v[138:139], s[48:49], v[138:139]
	v_mul_f64_e32 v[136:137], s[14:15], v[136:137]
	v_add_f64_e32 v[74:75], v[82:83], v[74:75]
	v_mul_f64_e32 v[82:83], s[46:47], v[174:175]
	s_delay_alu instid0(VALU_DEP_1) | instskip(NEXT) | instid1(VALU_DEP_1)
	v_fma_f64 v[94:95], v[59:60], s[16:17], v[82:83]
	v_add_f64_e32 v[78:79], v[94:95], v[78:79]
	v_mul_f64_e32 v[94:95], s[12:13], v[154:155]
	s_delay_alu instid0(VALU_DEP_1) | instskip(NEXT) | instid1(VALU_DEP_1)
	v_fma_f64 v[96:97], v[57:58], s[42:43], v[94:95]
	;; [unrolled: 4-line block ×5, first 2 shown]
	v_add_f64_e32 v[78:79], v[195:196], v[78:79]
	v_fma_f64 v[195:196], v[35:36], s[56:57], v[199:200]
	s_delay_alu instid0(VALU_DEP_1) | instskip(SKIP_1) | instid1(VALU_DEP_1)
	v_add_f64_e32 v[74:75], v[195:196], v[74:75]
	v_fma_f64 v[195:196], v[31:32], s[0:1], v[201:202]
	v_add_f64_e32 v[78:79], v[195:196], v[78:79]
	v_fma_f64 v[195:196], v[29:30], s[30:31], v[203:204]
	s_delay_alu instid0(VALU_DEP_1) | instskip(SKIP_1) | instid1(VALU_DEP_1)
	v_add_f64_e32 v[74:75], v[195:196], v[74:75]
	v_fma_f64 v[195:196], v[33:34], s[24:25], v[213:214]
	v_add_f64_e32 v[78:79], v[195:196], v[78:79]
	v_fma_f64 v[195:196], v[37:38], s[50:51], v[215:216]
	s_delay_alu instid0(VALU_DEP_1) | instskip(SKIP_1) | instid1(VALU_DEP_1)
	v_add_f64_e32 v[195:196], v[195:196], v[74:75]
	v_mul_f64_e32 v[74:75], s[44:45], v[130:131]
	v_fma_f64 v[197:198], v[70:71], s[14:15], v[74:75]
	v_fma_f64 v[74:75], v[70:71], s[14:15], -v[74:75]
	s_delay_alu instid0(VALU_DEP_2) | instskip(SKIP_2) | instid1(VALU_DEP_2)
	v_add_f64_e32 v[197:198], v[197:198], v[78:79]
	v_fma_f64 v[78:79], v[61:62], s[46:47], v[80:81]
	v_mul_f64_e32 v[80:81], s[10:11], v[176:177]
	v_add_f64_e32 v[2:3], v[78:79], v[2:3]
	v_fma_f64 v[78:79], v[59:60], s[16:17], -v[82:83]
	s_delay_alu instid0(VALU_DEP_3) | instskip(NEXT) | instid1(VALU_DEP_2)
	v_fma_f64 v[82:83], v[61:62], s[52:53], v[80:81]
	v_add_f64_e32 v[76:77], v[78:79], v[76:77]
	v_fma_f64 v[78:79], v[57:58], s[58:59], v[94:95]
	s_delay_alu instid0(VALU_DEP_1) | instskip(SKIP_1) | instid1(VALU_DEP_1)
	v_add_f64_e32 v[2:3], v[78:79], v[2:3]
	v_fma_f64 v[78:79], v[51:52], s[12:13], -v[96:97]
	v_add_f64_e32 v[76:77], v[78:79], v[76:77]
	v_fma_f64 v[78:79], v[49:50], s[26:27], v[98:99]
	s_delay_alu instid0(VALU_DEP_1) | instskip(SKIP_1) | instid1(VALU_DEP_1)
	v_add_f64_e32 v[2:3], v[78:79], v[2:3]
	v_fma_f64 v[78:79], v[39:40], s[18:19], -v[100:101]
	;; [unrolled: 5-line block ×4, first 2 shown]
	v_add_f64_e32 v[76:77], v[78:79], v[76:77]
	v_fma_f64 v[78:79], v[37:38], s[44:45], v[215:216]
	s_delay_alu instid0(VALU_DEP_2) | instskip(NEXT) | instid1(VALU_DEP_2)
	v_add_f64_e32 v[201:202], v[74:75], v[76:77]
	v_add_f64_e32 v[199:200], v[78:79], v[2:3]
	v_mul_f64_e32 v[2:3], s[18:19], v[182:183]
	v_mul_f64_e32 v[76:77], s[36:37], v[180:181]
	s_delay_alu instid0(VALU_DEP_2) | instskip(NEXT) | instid1(VALU_DEP_2)
	v_fma_f64 v[74:75], v[55:56], s[26:27], v[2:3]
	v_fma_f64 v[78:79], v[53:54], s[18:19], v[76:77]
	;; [unrolled: 1-line block ×3, first 2 shown]
	s_delay_alu instid0(VALU_DEP_3) | instskip(NEXT) | instid1(VALU_DEP_3)
	v_add_f64_e32 v[74:75], v[74:75], v[209:210]
	v_add_f64_e32 v[78:79], v[78:79], v[211:212]
	s_delay_alu instid0(VALU_DEP_2) | instskip(SKIP_1) | instid1(VALU_DEP_1)
	v_add_f64_e32 v[74:75], v[82:83], v[74:75]
	v_mul_f64_e32 v[82:83], s[38:39], v[174:175]
	v_fma_f64 v[94:95], v[59:60], s[10:11], v[82:83]
	s_delay_alu instid0(VALU_DEP_1) | instskip(SKIP_1) | instid1(VALU_DEP_1)
	v_add_f64_e32 v[78:79], v[94:95], v[78:79]
	v_mul_f64_e32 v[94:95], s[24:25], v[154:155]
	v_fma_f64 v[96:97], v[57:58], s[30:31], v[94:95]
	s_delay_alu instid0(VALU_DEP_1) | instskip(SKIP_1) | instid1(VALU_DEP_1)
	v_add_f64_e32 v[74:75], v[96:97], v[74:75]
	v_mul_f64_e32 v[96:97], s[54:55], v[150:151]
	v_fma_f64 v[98:99], v[51:52], s[24:25], v[96:97]
	s_delay_alu instid0(VALU_DEP_1) | instskip(SKIP_2) | instid1(VALU_DEP_2)
	v_add_f64_e32 v[78:79], v[98:99], v[78:79]
	v_mul_f64_e32 v[98:99], s[12:13], v[144:145]
	v_mul_f64_e32 v[144:145], s[60:61], v[130:131]
	v_fma_f64 v[100:101], v[49:50], s[58:59], v[98:99]
	s_delay_alu instid0(VALU_DEP_1) | instskip(SKIP_1) | instid1(VALU_DEP_1)
	v_add_f64_e32 v[74:75], v[100:101], v[74:75]
	v_mul_f64_e32 v[100:101], s[42:43], v[142:143]
	v_fma_f64 v[142:143], v[39:40], s[12:13], v[100:101]
	s_delay_alu instid0(VALU_DEP_1) | instskip(SKIP_1) | instid1(VALU_DEP_1)
	v_add_f64_e32 v[78:79], v[142:143], v[78:79]
	v_fma_f64 v[142:143], v[35:36], s[40:41], v[140:141]
	v_add_f64_e32 v[74:75], v[142:143], v[74:75]
	v_fma_f64 v[142:143], v[31:32], s[28:29], v[138:139]
	s_delay_alu instid0(VALU_DEP_1) | instskip(SKIP_1) | instid1(VALU_DEP_1)
	v_add_f64_e32 v[78:79], v[142:143], v[78:79]
	v_fma_f64 v[142:143], v[29:30], s[50:51], v[136:137]
	v_add_f64_e32 v[74:75], v[142:143], v[74:75]
	v_fma_f64 v[142:143], v[33:34], s[14:15], v[134:135]
	s_delay_alu instid0(VALU_DEP_1) | instskip(SKIP_1) | instid1(VALU_DEP_1)
	v_add_f64_e32 v[78:79], v[142:143], v[78:79]
	v_mul_f64_e32 v[142:143], s[16:17], v[132:133]
	v_fma_f64 v[130:131], v[37:38], s[46:47], v[142:143]
	s_delay_alu instid0(VALU_DEP_1) | instskip(SKIP_1) | instid1(VALU_DEP_1)
	v_add_f64_e32 v[130:131], v[130:131], v[74:75]
	v_fma_f64 v[74:75], v[70:71], s[16:17], v[144:145]
	v_add_f64_e32 v[132:133], v[74:75], v[78:79]
	scratch_load_b64 v[74:75], off, off offset:212 th:TH_LOAD_LU ; 8-byte Folded Reload
	v_fma_f64 v[78:79], v[70:71], s[16:17], -v[144:145]
	s_wait_loadcnt 0x0
	v_add_f64_e32 v[2:3], v[2:3], v[74:75]
	v_fma_f64 v[74:75], v[53:54], s[18:19], -v[76:77]
	scratch_load_b64 v[76:77], off, off offset:204 th:TH_LOAD_LU ; 8-byte Folded Reload
	s_wait_loadcnt 0x0
	v_add_f64_e32 v[74:75], v[74:75], v[76:77]
	v_fma_f64 v[76:77], v[61:62], s[38:39], v[80:81]
	s_delay_alu instid0(VALU_DEP_1) | instskip(SKIP_1) | instid1(VALU_DEP_1)
	v_add_f64_e32 v[2:3], v[76:77], v[2:3]
	v_fma_f64 v[76:77], v[59:60], s[10:11], -v[82:83]
	v_add_f64_e32 v[74:75], v[76:77], v[74:75]
	v_fma_f64 v[76:77], v[57:58], s[54:55], v[94:95]
	s_delay_alu instid0(VALU_DEP_1) | instskip(SKIP_1) | instid1(VALU_DEP_1)
	v_add_f64_e32 v[2:3], v[76:77], v[2:3]
	v_fma_f64 v[76:77], v[51:52], s[24:25], -v[96:97]
	;; [unrolled: 5-line block ×5, first 2 shown]
	v_add_f64_e32 v[74:75], v[76:77], v[74:75]
	v_fma_f64 v[76:77], v[37:38], s[60:61], v[142:143]
	s_delay_alu instid0(VALU_DEP_2)
	v_add_f64_e32 v[136:137], v[78:79], v[74:75]
	scratch_load_b64 v[74:75], off, off offset:196 th:TH_LOAD_LU ; 8-byte Folded Reload
	v_add_f64_e32 v[134:135], v[76:77], v[2:3]
	scratch_load_b64 v[76:77], off, off offset:188 th:TH_LOAD_LU ; 8-byte Folded Reload
	v_fma_f64 v[2:3], v[55:56], s[52:53], v[247:248]
	s_wait_loadcnt 0x1
	s_delay_alu instid0(VALU_DEP_1) | instskip(SKIP_2) | instid1(VALU_DEP_1)
	v_add_f64_e32 v[2:3], v[2:3], v[74:75]
	v_fma_f64 v[74:75], v[53:54], s[10:11], -v[249:250]
	s_wait_loadcnt 0x0
	v_add_f64_e32 v[74:75], v[74:75], v[76:77]
	v_fma_f64 v[76:77], v[61:62], s[54:55], v[251:252]
	s_delay_alu instid0(VALU_DEP_1) | instskip(SKIP_1) | instid1(VALU_DEP_1)
	v_add_f64_e32 v[2:3], v[76:77], v[2:3]
	v_fma_f64 v[76:77], v[59:60], s[24:25], -v[253:254]
	v_add_f64_e32 v[74:75], v[76:77], v[74:75]
	v_fma_f64 v[76:77], v[57:58], s[40:41], v[243:244]
	s_delay_alu instid0(VALU_DEP_2) | instskip(NEXT) | instid1(VALU_DEP_2)
	v_add_f64_e32 v[0:1], v[0:1], v[74:75]
	v_add_f64_e32 v[2:3], v[76:77], v[2:3]
	s_delay_alu instid0(VALU_DEP_1) | instskip(SKIP_2) | instid1(VALU_DEP_2)
	v_add_f64_e32 v[2:3], v[4:5], v[2:3]
	v_fma_f64 v[4:5], v[39:40], s[0:1], -v[6:7]
	v_fma_f64 v[6:7], v[70:71], s[12:13], -v[14:15]
	v_add_f64_e32 v[0:1], v[4:5], v[0:1]
	v_fma_f64 v[4:5], v[35:36], s[60:61], v[8:9]
	s_delay_alu instid0(VALU_DEP_1) | instskip(SKIP_1) | instid1(VALU_DEP_1)
	v_add_f64_e32 v[2:3], v[4:5], v[2:3]
	v_fma_f64 v[4:5], v[31:32], s[16:17], -v[10:11]
	v_add_f64_e32 v[0:1], v[4:5], v[0:1]
	v_fma_f64 v[4:5], v[29:30], s[26:27], v[12:13]
	s_delay_alu instid0(VALU_DEP_1) | instskip(SKIP_1) | instid1(VALU_DEP_1)
	v_add_f64_e32 v[2:3], v[4:5], v[2:3]
	v_fma_f64 v[4:5], v[33:34], s[18:19], -v[16:17]
	v_add_f64_e32 v[0:1], v[4:5], v[0:1]
	v_fma_f64 v[4:5], v[37:38], s[42:43], v[18:19]
	s_delay_alu instid0(VALU_DEP_2) | instskip(NEXT) | instid1(VALU_DEP_2)
	v_add_f64_e32 v[140:141], v[6:7], v[0:1]
	v_add_f64_e32 v[138:139], v[4:5], v[2:3]
	s_clause 0x1
	scratch_load_b64 v[2:3], off, off offset:180 th:TH_LOAD_LU
	scratch_load_b64 v[4:5], off, off offset:172 th:TH_LOAD_LU
	v_fma_f64 v[0:1], v[55:56], s[34:35], v[217:218]
	v_fma_f64 v[6:7], v[70:71], s[24:25], -v[245:246]
	s_wait_loadcnt 0x1
	s_delay_alu instid0(VALU_DEP_2) | instskip(SKIP_2) | instid1(VALU_DEP_1)
	v_add_f64_e32 v[0:1], v[0:1], v[2:3]
	v_fma_f64 v[2:3], v[53:54], s[0:1], -v[219:220]
	s_wait_loadcnt 0x0
	v_add_f64_e32 v[2:3], v[2:3], v[4:5]
	v_fma_f64 v[4:5], v[61:62], s[50:51], v[221:222]
	s_delay_alu instid0(VALU_DEP_1) | instskip(SKIP_1) | instid1(VALU_DEP_1)
	v_add_f64_e32 v[0:1], v[4:5], v[0:1]
	v_fma_f64 v[4:5], v[59:60], s[14:15], -v[223:224]
	v_add_f64_e32 v[2:3], v[4:5], v[2:3]
	v_fma_f64 v[4:5], v[57:58], s[36:37], v[225:226]
	s_delay_alu instid0(VALU_DEP_1) | instskip(SKIP_1) | instid1(VALU_DEP_1)
	v_add_f64_e32 v[0:1], v[4:5], v[0:1]
	v_fma_f64 v[4:5], v[51:52], s[18:19], -v[227:228]
	;; [unrolled: 5-line block ×5, first 2 shown]
	v_add_f64_e32 v[2:3], v[4:5], v[2:3]
	v_fma_f64 v[4:5], v[37:38], s[54:55], v[241:242]
	s_delay_alu instid0(VALU_DEP_2)
	v_add_f64_e32 v[100:101], v[6:7], v[2:3]
	scratch_load_b64 v[2:3], off, off offset:164 th:TH_LOAD_LU ; 8-byte Folded Reload
	v_add_f64_e32 v[98:99], v[4:5], v[0:1]
	scratch_load_b64 v[4:5], off, off offset:156 th:TH_LOAD_LU ; 8-byte Folded Reload
	v_fma_f64 v[0:1], v[55:56], s[42:43], v[146:147]
	v_fma_f64 v[6:7], v[70:71], s[10:11], -v[184:185]
	s_wait_loadcnt 0x1
	s_delay_alu instid0(VALU_DEP_2) | instskip(SKIP_2) | instid1(VALU_DEP_1)
	v_add_f64_e32 v[0:1], v[0:1], v[2:3]
	v_fma_f64 v[2:3], v[53:54], s[12:13], -v[148:149]
	s_wait_loadcnt 0x0
	v_add_f64_e32 v[2:3], v[2:3], v[4:5]
	v_fma_f64 v[4:5], v[61:62], s[56:57], v[152:153]
	s_delay_alu instid0(VALU_DEP_1) | instskip(SKIP_1) | instid1(VALU_DEP_1)
	v_add_f64_e32 v[0:1], v[4:5], v[0:1]
	v_fma_f64 v[4:5], v[59:60], s[0:1], -v[67:68]
	v_add_f64_e32 v[2:3], v[4:5], v[2:3]
	v_fma_f64 v[4:5], v[57:58], s[50:51], v[72:73]
	s_delay_alu instid0(VALU_DEP_1) | instskip(SKIP_1) | instid1(VALU_DEP_1)
	v_add_f64_e32 v[0:1], v[4:5], v[0:1]
	v_fma_f64 v[4:5], v[51:52], s[14:15], -v[160:161]
	;; [unrolled: 5-line block ×5, first 2 shown]
	v_add_f64_e32 v[2:3], v[4:5], v[2:3]
	v_fma_f64 v[4:5], v[37:38], s[38:39], v[178:179]
	s_delay_alu instid0(VALU_DEP_2)
	v_add_f64_e32 v[96:97], v[6:7], v[2:3]
	scratch_load_b64 v[2:3], off, off offset:52 th:TH_LOAD_LU ; 8-byte Folded Reload
	v_add_f64_e32 v[94:95], v[4:5], v[0:1]
	scratch_load_b64 v[4:5], off, off offset:36 th:TH_LOAD_LU ; 8-byte Folded Reload
	v_fma_f64 v[0:1], v[55:56], s[46:47], v[102:103]
	v_fma_f64 v[6:7], v[70:71], s[18:19], -v[128:129]
	s_wait_loadcnt 0x1
	s_delay_alu instid0(VALU_DEP_2) | instskip(SKIP_2) | instid1(VALU_DEP_1)
	v_add_f64_e32 v[0:1], v[0:1], v[2:3]
	v_fma_f64 v[2:3], v[53:54], s[16:17], -v[104:105]
	s_wait_loadcnt 0x0
	v_add_f64_e32 v[2:3], v[2:3], v[4:5]
	v_fma_f64 v[4:5], v[61:62], s[42:43], v[106:107]
	s_delay_alu instid0(VALU_DEP_1) | instskip(SKIP_1) | instid1(VALU_DEP_1)
	v_add_f64_e32 v[0:1], v[4:5], v[0:1]
	v_fma_f64 v[4:5], v[59:60], s[12:13], -v[108:109]
	v_add_f64_e32 v[2:3], v[4:5], v[2:3]
	v_fma_f64 v[4:5], v[57:58], s[34:35], v[110:111]
	s_delay_alu instid0(VALU_DEP_1) | instskip(SKIP_1) | instid1(VALU_DEP_1)
	v_add_f64_e32 v[0:1], v[4:5], v[0:1]
	v_fma_f64 v[4:5], v[51:52], s[0:1], -v[112:113]
	;; [unrolled: 5-line block ×5, first 2 shown]
	v_add_f64_e32 v[2:3], v[4:5], v[2:3]
	v_fma_f64 v[4:5], v[37:38], s[36:37], v[126:127]
	s_delay_alu instid0(VALU_DEP_2) | instskip(NEXT) | instid1(VALU_DEP_2)
	v_add_f64_e32 v[104:105], v[6:7], v[2:3]
	v_add_f64_e32 v[102:103], v[4:5], v[0:1]
	s_clause 0x3
	scratch_load_b64 v[0:1], off, off offset:68 th:TH_LOAD_LU
	scratch_load_b64 v[6:7], off, off offset:108 th:TH_LOAD_LU
	;; [unrolled: 1-line block ×4, first 2 shown]
	s_wait_loadcnt 0x3
	v_fma_f64 v[0:1], v[55:56], s[30:31], v[0:1]
	s_wait_loadcnt 0x2
	v_fma_f64 v[6:7], v[59:60], s[28:29], -v[6:7]
	s_wait_loadcnt 0x1
	s_delay_alu instid0(VALU_DEP_2) | instskip(SKIP_4) | instid1(VALU_DEP_1)
	v_add_f64_e32 v[0:1], v[0:1], v[4:5]
	scratch_load_b64 v[4:5], off, off offset:20 th:TH_LOAD_LU ; 8-byte Folded Reload
	s_wait_loadcnt 0x1
	v_fma_f64 v[2:3], v[53:54], s[24:25], -v[2:3]
	s_wait_loadcnt 0x0
	v_add_f64_e32 v[2:3], v[2:3], v[4:5]
	scratch_load_b64 v[4:5], off, off offset:100 th:TH_LOAD_LU ; 8-byte Folded Reload
	v_add_f64_e32 v[2:3], v[6:7], v[2:3]
	scratch_load_b64 v[6:7], off, off offset:124 th:TH_LOAD_LU ; 8-byte Folded Reload
	s_wait_loadcnt 0x1
	v_fma_f64 v[4:5], v[61:62], s[40:41], v[4:5]
	s_delay_alu instid0(VALU_DEP_1) | instskip(SKIP_3) | instid1(VALU_DEP_1)
	v_add_f64_e32 v[0:1], v[4:5], v[0:1]
	scratch_load_b64 v[4:5], off, off offset:116 th:TH_LOAD_LU ; 8-byte Folded Reload
	s_wait_loadcnt 0x1
	v_fma_f64 v[6:7], v[51:52], s[16:17], -v[6:7]
	v_add_f64_e32 v[2:3], v[6:7], v[2:3]
	scratch_load_b64 v[6:7], off, off offset:140 th:TH_LOAD_LU ; 8-byte Folded Reload
	s_wait_loadcnt 0x1
	v_fma_f64 v[4:5], v[57:58], s[46:47], v[4:5]
	s_delay_alu instid0(VALU_DEP_1) | instskip(SKIP_3) | instid1(VALU_DEP_1)
	v_add_f64_e32 v[0:1], v[4:5], v[0:1]
	scratch_load_b64 v[4:5], off, off offset:132 th:TH_LOAD_LU ; 8-byte Folded Reload
	s_wait_loadcnt 0x1
	v_fma_f64 v[6:7], v[39:40], s[14:15], -v[6:7]
	v_add_f64_e32 v[2:3], v[6:7], v[2:3]
	v_fma_f64 v[6:7], v[31:32], s[12:13], -v[84:85]
	s_delay_alu instid0(VALU_DEP_1) | instskip(SKIP_1) | instid1(VALU_DEP_1)
	v_add_f64_e32 v[2:3], v[6:7], v[2:3]
	v_fma_f64 v[6:7], v[33:34], s[10:11], -v[88:89]
	v_add_f64_e32 v[2:3], v[6:7], v[2:3]
	v_fma_f64 v[6:7], v[70:71], s[0:1], -v[92:93]
	s_delay_alu instid0(VALU_DEP_1) | instskip(SKIP_2) | instid1(VALU_DEP_1)
	v_add_f64_e32 v[32:33], v[6:7], v[2:3]
	s_wait_loadcnt 0x0
	v_fma_f64 v[4:5], v[49:50], s[44:45], v[4:5]
	v_add_f64_e32 v[0:1], v[4:5], v[0:1]
	scratch_load_b64 v[4:5], off, off offset:148 th:TH_LOAD_LU ; 8-byte Folded Reload
	s_wait_loadcnt 0x0
	v_fma_f64 v[4:5], v[35:36], s[42:43], v[4:5]
	s_delay_alu instid0(VALU_DEP_1) | instskip(SKIP_1) | instid1(VALU_DEP_1)
	v_add_f64_e32 v[0:1], v[4:5], v[0:1]
	v_fma_f64 v[4:5], v[29:30], s[38:39], v[86:87]
	v_add_f64_e32 v[0:1], v[4:5], v[0:1]
	v_fma_f64 v[4:5], v[37:38], s[34:35], v[90:91]
	s_delay_alu instid0(VALU_DEP_1) | instskip(SKIP_4) | instid1(VALU_DEP_1)
	v_add_f64_e32 v[30:31], v[4:5], v[0:1]
	scratch_load_b32 v1, off, off           ; 4-byte Folded Reload
	v_mul_u32_u24_e32 v0, 0x770, v190
	s_wait_loadcnt 0x0
	v_lshlrev_b32_e32 v29, 4, v1
	v_add3_u32 v0, 0, v0, v29
	ds_store_b128 v0, v[186:189]
	ds_store_b128 v0, v[63:66] offset:112
	s_load_b64 s[64:65], s[64:65], 0x0
	ds_store_b128 v0, v[156:159] offset:224
	ds_store_b128 v0, v[45:48] offset:336
	;; [unrolled: 1-line block ×15, first 2 shown]
	global_wb scope:SCOPE_SE
	s_wait_storecnt_dscnt 0x0
	s_wait_kmcnt 0x0
	s_barrier_signal -1
	s_barrier_wait -1
	global_inv scope:SCOPE_SE
	s_and_saveexec_b32 s66, s33
	s_cbranch_execz .LBB0_16
; %bb.15:
	v_mul_lo_u16 v0, v190, 31
	s_delay_alu instid0(VALU_DEP_1) | instskip(NEXT) | instid1(VALU_DEP_1)
	v_lshrrev_b16 v0, 9, v0
	v_mul_lo_u16 v0, v0, 17
	s_delay_alu instid0(VALU_DEP_1) | instskip(NEXT) | instid1(VALU_DEP_1)
	v_sub_nc_u16 v0, v190, v0
	v_and_b32_e32 v51, 0xff, v0
	v_mul_u32_u24_e32 v0, 0x70, v190
	s_delay_alu instid0(VALU_DEP_2) | instskip(NEXT) | instid1(VALU_DEP_2)
	v_lshlrev_b32_e32 v21, 8, v51
	v_add3_u32 v22, 0, v0, v29
	s_clause 0x7
	global_load_b128 v[1:4], v21, s[62:63] offset:112
	global_load_b128 v[17:20], v21, s[62:63] offset:128
	global_load_b128 v[13:16], v21, s[62:63] offset:96
	global_load_b128 v[9:12], v21, s[62:63] offset:144
	global_load_b128 v[5:8], v21, s[62:63] offset:80
	global_load_b128 v[23:26], v21, s[62:63] offset:160
	global_load_b128 v[30:33], v21, s[62:63] offset:64
	global_load_b128 v[34:37], v21, s[62:63] offset:176
	ds_load_b128 v[38:41], v22 offset:15232
	ds_load_b128 v[42:45], v22 offset:17136
	;; [unrolled: 1-line block ×4, first 2 shown]
	s_wait_loadcnt_dscnt 0x703
	v_mul_f64_e32 v[27:28], v[38:39], v[3:4]
	v_mul_f64_e32 v[3:4], v[40:41], v[3:4]
	s_wait_loadcnt_dscnt 0x602
	v_mul_f64_e32 v[46:47], v[42:43], v[19:20]
	v_mul_f64_e32 v[19:20], v[44:45], v[19:20]
	s_wait_loadcnt_dscnt 0x501
	v_mul_f64_e32 v[57:58], v[59:60], v[15:16]
	v_fma_f64 v[76:77], v[40:41], v[1:2], v[27:28]
	v_fma_f64 v[78:79], v[38:39], v[1:2], -v[3:4]
	ds_load_b128 v[1:4], v22 offset:19040
	ds_load_b128 v[38:41], v22 offset:20944
	v_mul_f64_e32 v[27:28], v[61:62], v[15:16]
	v_fma_f64 v[80:81], v[44:45], v[17:18], v[46:47]
	v_fma_f64 v[82:83], v[42:43], v[17:18], -v[19:20]
	global_load_b128 v[15:18], v21, s[62:63] offset:48
	v_fma_f64 v[84:85], v[61:62], v[13:14], v[57:58]
	s_wait_loadcnt_dscnt 0x501
	v_mul_f64_e32 v[19:20], v[1:2], v[11:12]
	v_mul_f64_e32 v[42:43], v[3:4], v[11:12]
	v_fma_f64 v[86:87], v[59:60], v[13:14], -v[27:28]
	s_wait_loadcnt 0x4
	v_mul_f64_e32 v[27:28], v[65:66], v[7:8]
	global_load_b128 v[11:14], v21, s[62:63] offset:192
	v_mul_f64_e32 v[7:8], v[67:68], v[7:8]
	v_fma_f64 v[88:89], v[3:4], v[9:10], v[19:20]
	v_fma_f64 v[90:91], v[1:2], v[9:10], -v[42:43]
	s_wait_loadcnt_dscnt 0x400
	v_mul_f64_e32 v[9:10], v[38:39], v[25:26]
	v_mul_f64_e32 v[19:20], v[40:41], v[25:26]
	ds_load_b128 v[1:4], v22 offset:9520
	v_fma_f64 v[92:93], v[67:68], v[5:6], v[27:28]
	v_fma_f64 v[94:95], v[65:66], v[5:6], -v[7:8]
	ds_load_b128 v[5:8], v22 offset:7616
	s_wait_loadcnt_dscnt 0x301
	v_mul_f64_e32 v[27:28], v[1:2], v[32:33]
	v_mul_f64_e32 v[32:33], v[3:4], v[32:33]
	v_fma_f64 v[59:60], v[40:41], v[23:24], v[9:10]
	v_fma_f64 v[67:68], v[38:39], v[23:24], -v[19:20]
	global_load_b128 v[23:26], v21, s[62:63] offset:32
	ds_load_b128 v[38:41], v22 offset:22848
	v_fma_f64 v[96:97], v[3:4], v[30:31], v[27:28]
	v_fma_f64 v[100:101], v[1:2], v[30:31], -v[32:33]
	ds_load_b128 v[1:4], v22 offset:24752
	global_load_b128 v[27:30], v21, s[62:63] offset:208
	s_wait_loadcnt_dscnt 0x401
	v_mul_f64_e32 v[9:10], v[38:39], v[36:37]
	v_mul_f64_e32 v[19:20], v[40:41], v[36:37]
	s_delay_alu instid0(VALU_DEP_2) | instskip(NEXT) | instid1(VALU_DEP_2)
	v_fma_f64 v[55:56], v[40:41], v[34:35], v[9:10]
	v_fma_f64 v[63:64], v[38:39], v[34:35], -v[19:20]
	s_wait_loadcnt 0x3
	v_mul_f64_e32 v[9:10], v[5:6], v[17:18]
	v_mul_f64_e32 v[17:18], v[7:8], v[17:18]
	s_delay_alu instid0(VALU_DEP_2) | instskip(SKIP_3) | instid1(VALU_DEP_4)
	v_fma_f64 v[110:111], v[7:8], v[15:16], v[9:10]
	s_wait_loadcnt_dscnt 0x200
	v_mul_f64_e32 v[9:10], v[1:2], v[13:14]
	v_mul_f64_e32 v[13:14], v[3:4], v[13:14]
	v_fma_f64 v[112:113], v[5:6], v[15:16], -v[17:18]
	ds_load_b128 v[5:8], v22 offset:5712
	v_fma_f64 v[52:53], v[3:4], v[11:12], v[9:10]
	v_fma_f64 v[108:109], v[1:2], v[11:12], -v[13:14]
	ds_load_b128 v[9:12], v22 offset:3808
	s_wait_loadcnt_dscnt 0x101
	v_mul_f64_e32 v[0:1], v[5:6], v[25:26]
	v_mul_f64_e32 v[2:3], v[7:8], v[25:26]
	s_delay_alu instid0(VALU_DEP_2) | instskip(NEXT) | instid1(VALU_DEP_2)
	v_fma_f64 v[218:219], v[7:8], v[23:24], v[0:1]
	v_fma_f64 v[220:221], v[5:6], v[23:24], -v[2:3]
	ds_load_b128 v[1:4], v22 offset:26656
	ds_load_b128 v[13:16], v22 offset:28560
	v_mul_lo_u32 v0, v69, v51
	s_wait_loadcnt_dscnt 0x1
	v_mul_f64_e32 v[5:6], v[1:2], v[29:30]
	s_delay_alu instid0(VALU_DEP_1) | instskip(SKIP_1) | instid1(VALU_DEP_2)
	v_fma_f64 v[200:201], v[3:4], v[27:28], v[5:6]
	v_mul_f64_e32 v[3:4], v[3:4], v[29:30]
	v_add_f64_e32 v[244:245], v[218:219], v[200:201]
	s_delay_alu instid0(VALU_DEP_2)
	v_fma_f64 v[216:217], v[1:2], v[27:28], -v[3:4]
	s_clause 0x1
	global_load_b128 v[5:8], v21, s[62:63] offset:16
	global_load_b128 v[1:4], v21, s[62:63]
	s_wait_loadcnt 0x1
	v_mul_f64_e32 v[17:18], v[9:10], v[7:8]
	v_mul_f64_e32 v[7:8], v[11:12], v[7:8]
	s_delay_alu instid0(VALU_DEP_2) | instskip(NEXT) | instid1(VALU_DEP_2)
	v_fma_f64 v[224:225], v[11:12], v[5:6], v[17:18]
	v_fma_f64 v[226:227], v[9:10], v[5:6], -v[7:8]
	s_clause 0x1
	global_load_b128 v[9:12], v21, s[62:63] offset:224
	global_load_b128 v[5:8], v21, s[62:63] offset:240
	s_wait_loadcnt_dscnt 0x100
	v_mul_f64_e32 v[17:18], v[13:14], v[11:12]
	v_mul_f64_e32 v[11:12], v[15:16], v[11:12]
	s_delay_alu instid0(VALU_DEP_2) | instskip(NEXT) | instid1(VALU_DEP_2)
	v_fma_f64 v[70:71], v[15:16], v[9:10], v[17:18]
	v_fma_f64 v[222:223], v[13:14], v[9:10], -v[11:12]
	ds_load_b128 v[9:12], v22 offset:1904
	ds_load_b128 v[17:20], v22
	s_wait_dscnt 0x1
	v_mul_f64_e32 v[13:14], v[9:10], v[3:4]
	v_mul_f64_e32 v[3:4], v[11:12], v[3:4]
	s_delay_alu instid0(VALU_DEP_2) | instskip(NEXT) | instid1(VALU_DEP_2)
	v_fma_f64 v[234:235], v[11:12], v[1:2], v[13:14]
	v_fma_f64 v[236:237], v[9:10], v[1:2], -v[3:4]
	ds_load_b128 v[1:4], v22 offset:30464
	s_wait_loadcnt_dscnt 0x0
	v_mul_f64_e32 v[9:10], v[1:2], v[7:8]
	s_delay_alu instid0(VALU_DEP_1) | instskip(SKIP_1) | instid1(VALU_DEP_2)
	v_fma_f64 v[228:229], v[3:4], v[5:6], v[9:10]
	v_mul_f64_e32 v[3:4], v[3:4], v[7:8]
	v_add_f64_e32 v[248:249], v[234:235], v[228:229]
	s_delay_alu instid0(VALU_DEP_2) | instskip(SKIP_4) | instid1(VALU_DEP_4)
	v_fma_f64 v[232:233], v[1:2], v[5:6], -v[3:4]
	v_lshrrev_b32_e32 v1, 4, v0
	v_and_b32_e32 v2, 0xff, v0
	v_lshrrev_b32_e32 v0, 12, v0
	v_add_f64_e64 v[252:253], v[234:235], -v[228:229]
	v_and_b32_e32 v1, 0xff0, v1
	s_delay_alu instid0(VALU_DEP_4) | instskip(NEXT) | instid1(VALU_DEP_4)
	v_lshlrev_b32_e32 v5, 4, v2
	v_and_b32_e32 v0, 0xff0, v0
	s_clause 0x2
	global_load_b128 v[1:4], v1, s[8:9] offset:4096
	global_load_b128 v[5:8], v5, s[8:9]
	global_load_b128 v[9:12], v0, s[8:9] offset:8192
	v_add_nc_u32_e32 v0, 0x110, v51
	s_delay_alu instid0(VALU_DEP_1) | instskip(SKIP_4) | instid1(VALU_DEP_2)
	v_mul_lo_u32 v0, v69, v0
	v_mul_f64_e32 v[240:241], s[28:29], v[248:249]
	s_wait_loadcnt 0x1
	v_mul_f64_e32 v[13:14], v[7:8], v[3:4]
	v_mul_f64_e32 v[3:4], v[5:6], v[3:4]
	v_fma_f64 v[114:115], v[5:6], v[1:2], -v[13:14]
	s_delay_alu instid0(VALU_DEP_2) | instskip(SKIP_2) | instid1(VALU_DEP_2)
	v_fma_f64 v[150:151], v[7:8], v[1:2], v[3:4]
	v_add_nc_u32_e32 v1, 0xff, v51
	v_lshrrev_b32_e32 v2, 4, v0
	v_mul_lo_u32 v27, v69, v1
	v_and_b32_e32 v1, 0xff, v0
	v_lshrrev_b32_e32 v0, 12, v0
	s_delay_alu instid0(VALU_DEP_2) | instskip(SKIP_2) | instid1(VALU_DEP_4)
	v_lshlrev_b32_e32 v5, 4, v1
	v_and_b32_e32 v1, 0xff0, v2
	v_lshrrev_b32_e32 v2, 12, v27
	v_and_b32_e32 v0, 0xff0, v0
	s_delay_alu instid0(VALU_DEP_2)
	v_and_b32_e32 v21, 0xff0, v2
	s_clause 0x3
	global_load_b128 v[1:4], v1, s[8:9] offset:4096
	global_load_b128 v[5:8], v5, s[8:9]
	global_load_b128 v[13:16], v0, s[8:9] offset:8192
	global_load_b128 v[21:24], v21, s[8:9] offset:8192
	v_and_b32_e32 v0, 0xff, v27
	s_delay_alu instid0(VALU_DEP_1) | instskip(SKIP_3) | instid1(VALU_DEP_2)
	v_lshlrev_b32_e32 v0, 4, v0
	s_wait_loadcnt 0x2
	v_mul_f64_e32 v[25:26], v[7:8], v[3:4]
	v_mul_f64_e32 v[3:4], v[5:6], v[3:4]
	v_fma_f64 v[152:153], v[5:6], v[1:2], -v[25:26]
	s_delay_alu instid0(VALU_DEP_2) | instskip(SKIP_1) | instid1(VALU_DEP_1)
	v_fma_f64 v[154:155], v[7:8], v[1:2], v[3:4]
	v_lshrrev_b32_e32 v1, 4, v27
	v_and_b32_e32 v5, 0xff0, v1
	s_clause 0x1
	global_load_b128 v[1:4], v0, s[8:9]
	global_load_b128 v[5:8], v5, s[8:9] offset:4096
	s_wait_loadcnt 0x0
	v_mul_f64_e32 v[25:26], v[3:4], v[7:8]
	s_delay_alu instid0(VALU_DEP_1) | instskip(SKIP_1) | instid1(VALU_DEP_1)
	v_fma_f64 v[156:157], v[1:2], v[5:6], -v[25:26]
	v_mul_f64_e32 v[0:1], v[1:2], v[7:8]
	v_fma_f64 v[158:159], v[3:4], v[5:6], v[0:1]
	v_add_nc_u32_e32 v0, 0xee, v51
	v_add_nc_u32_e32 v1, 0xdd, v51
	s_delay_alu instid0(VALU_DEP_2) | instskip(NEXT) | instid1(VALU_DEP_2)
	v_mul_lo_u32 v0, v69, v0
	v_mul_lo_u32 v35, v69, v1
	s_delay_alu instid0(VALU_DEP_2) | instskip(SKIP_2) | instid1(VALU_DEP_3)
	v_and_b32_e32 v1, 0xff, v0
	v_lshrrev_b32_e32 v2, 4, v0
	v_lshrrev_b32_e32 v0, 12, v0
	v_lshlrev_b32_e32 v5, 4, v1
	s_delay_alu instid0(VALU_DEP_3) | instskip(SKIP_1) | instid1(VALU_DEP_4)
	v_and_b32_e32 v1, 0xff0, v2
	v_lshrrev_b32_e32 v2, 12, v35
	v_and_b32_e32 v0, 0xff0, v0
	s_delay_alu instid0(VALU_DEP_2)
	v_and_b32_e32 v29, 0xff0, v2
	s_clause 0x3
	global_load_b128 v[1:4], v1, s[8:9] offset:4096
	global_load_b128 v[5:8], v5, s[8:9]
	global_load_b128 v[25:28], v0, s[8:9] offset:8192
	global_load_b128 v[29:32], v29, s[8:9] offset:8192
	v_and_b32_e32 v0, 0xff, v35
	s_delay_alu instid0(VALU_DEP_1) | instskip(SKIP_3) | instid1(VALU_DEP_2)
	v_lshlrev_b32_e32 v0, 4, v0
	s_wait_loadcnt 0x2
	v_mul_f64_e32 v[33:34], v[7:8], v[3:4]
	v_mul_f64_e32 v[3:4], v[5:6], v[3:4]
	v_fma_f64 v[160:161], v[5:6], v[1:2], -v[33:34]
	s_delay_alu instid0(VALU_DEP_2) | instskip(SKIP_1) | instid1(VALU_DEP_1)
	v_fma_f64 v[162:163], v[7:8], v[1:2], v[3:4]
	v_lshrrev_b32_e32 v1, 4, v35
	v_and_b32_e32 v5, 0xff0, v1
	s_clause 0x1
	global_load_b128 v[1:4], v0, s[8:9]
	global_load_b128 v[5:8], v5, s[8:9] offset:4096
	s_wait_loadcnt 0x0
	v_mul_f64_e32 v[33:34], v[3:4], v[7:8]
	s_delay_alu instid0(VALU_DEP_1) | instskip(SKIP_1) | instid1(VALU_DEP_1)
	v_fma_f64 v[164:165], v[1:2], v[5:6], -v[33:34]
	v_mul_f64_e32 v[0:1], v[1:2], v[7:8]
	v_fma_f64 v[166:167], v[3:4], v[5:6], v[0:1]
	v_add_nc_u32_e32 v0, 0xcc, v51
	v_add_nc_u32_e32 v1, 0xbb, v51
	s_delay_alu instid0(VALU_DEP_2) | instskip(NEXT) | instid1(VALU_DEP_2)
	v_mul_lo_u32 v0, v69, v0
	v_mul_lo_u32 v43, v69, v1
	s_delay_alu instid0(VALU_DEP_2) | instskip(SKIP_2) | instid1(VALU_DEP_3)
	v_and_b32_e32 v1, 0xff, v0
	v_lshrrev_b32_e32 v2, 4, v0
	v_lshrrev_b32_e32 v0, 12, v0
	v_lshlrev_b32_e32 v5, 4, v1
	s_delay_alu instid0(VALU_DEP_3) | instskip(SKIP_1) | instid1(VALU_DEP_4)
	;; [unrolled: 41-line block ×6, first 2 shown]
	v_and_b32_e32 v1, 0xff0, v2
	v_lshrrev_b32_e32 v2, 12, v49
	v_and_b32_e32 v0, 0xff0, v0
	s_delay_alu instid0(VALU_DEP_2)
	v_and_b32_e32 v50, 0xff0, v2
	s_clause 0x3
	global_load_b128 v[1:4], v1, s[8:9] offset:4096
	global_load_b128 v[5:8], v5, s[8:9]
	global_load_b128 v[134:137], v0, s[8:9] offset:8192
	global_load_b128 v[138:141], v50, s[8:9] offset:8192
	v_and_b32_e32 v0, 0xff, v49
	s_delay_alu instid0(VALU_DEP_1) | instskip(SKIP_3) | instid1(VALU_DEP_2)
	v_lshlrev_b32_e32 v0, 4, v0
	s_wait_loadcnt 0x2
	v_mul_f64_e32 v[116:117], v[7:8], v[3:4]
	v_mul_f64_e32 v[3:4], v[5:6], v[3:4]
	v_fma_f64 v[202:203], v[5:6], v[1:2], -v[116:117]
	s_delay_alu instid0(VALU_DEP_2) | instskip(SKIP_1) | instid1(VALU_DEP_1)
	v_fma_f64 v[204:205], v[7:8], v[1:2], v[3:4]
	v_lshrrev_b32_e32 v1, 4, v49
	v_and_b32_e32 v5, 0xff0, v1
	s_clause 0x1
	global_load_b128 v[1:4], v0, s[8:9]
	global_load_b128 v[5:8], v5, s[8:9] offset:4096
	scratch_store_b32 off, v51, off offset:100 ; 4-byte Folded Spill
	s_wait_loadcnt 0x0
	v_mul_f64_e32 v[116:117], v[3:4], v[7:8]
	s_delay_alu instid0(VALU_DEP_1) | instskip(SKIP_1) | instid1(VALU_DEP_1)
	v_fma_f64 v[206:207], v[1:2], v[5:6], -v[116:117]
	v_mul_f64_e32 v[0:1], v[1:2], v[7:8]
	v_fma_f64 v[208:209], v[3:4], v[5:6], v[0:1]
	v_add_nc_u32_e32 v0, 34, v51
	v_add_nc_u32_e32 v1, 17, v51
	s_delay_alu instid0(VALU_DEP_2) | instskip(NEXT) | instid1(VALU_DEP_2)
	v_mul_lo_u32 v0, v69, v0
	v_mul_lo_u32 v49, v69, v1
	s_delay_alu instid0(VALU_DEP_2) | instskip(SKIP_2) | instid1(VALU_DEP_3)
	v_and_b32_e32 v1, 0xff, v0
	v_lshrrev_b32_e32 v2, 4, v0
	v_lshrrev_b32_e32 v0, 12, v0
	v_lshlrev_b32_e32 v5, 4, v1
	s_delay_alu instid0(VALU_DEP_3) | instskip(SKIP_1) | instid1(VALU_DEP_4)
	v_and_b32_e32 v1, 0xff0, v2
	v_lshrrev_b32_e32 v2, 12, v49
	v_and_b32_e32 v0, 0xff0, v0
	s_delay_alu instid0(VALU_DEP_2)
	v_and_b32_e32 v50, 0xff0, v2
	s_clause 0x3
	global_load_b128 v[1:4], v1, s[8:9] offset:4096
	global_load_b128 v[5:8], v5, s[8:9]
	global_load_b128 v[142:145], v0, s[8:9] offset:8192
	global_load_b128 v[146:149], v50, s[8:9] offset:8192
	v_and_b32_e32 v0, 0xff, v49
	s_delay_alu instid0(VALU_DEP_1) | instskip(SKIP_3) | instid1(VALU_DEP_2)
	v_lshlrev_b32_e32 v0, 4, v0
	s_wait_loadcnt 0x2
	v_mul_f64_e32 v[116:117], v[7:8], v[3:4]
	v_mul_f64_e32 v[3:4], v[5:6], v[3:4]
	v_fma_f64 v[210:211], v[5:6], v[1:2], -v[116:117]
	s_delay_alu instid0(VALU_DEP_2) | instskip(SKIP_2) | instid1(VALU_DEP_2)
	v_fma_f64 v[212:213], v[7:8], v[1:2], v[3:4]
	v_lshrrev_b32_e32 v1, 4, v49
	v_add_f64_e64 v[49:50], v[218:219], -v[200:201]
	v_and_b32_e32 v5, 0xff0, v1
	s_clause 0x1
	global_load_b128 v[1:4], v0, s[8:9]
	global_load_b128 v[5:8], v5, s[8:9] offset:4096
	s_wait_loadcnt 0x0
	v_mul_f64_e32 v[116:117], v[3:4], v[7:8]
	s_delay_alu instid0(VALU_DEP_1) | instskip(SKIP_2) | instid1(VALU_DEP_2)
	v_fma_f64 v[214:215], v[1:2], v[5:6], -v[116:117]
	v_mul_f64_e32 v[0:1], v[1:2], v[7:8]
	v_mul_f64_e32 v[7:8], v[158:159], v[23:24]
	v_fma_f64 v[0:1], v[3:4], v[5:6], v[0:1]
	v_mul_f64_e32 v[2:3], v[114:115], v[11:12]
	s_delay_alu instid0(VALU_DEP_3) | instskip(SKIP_2) | instid1(VALU_DEP_4)
	v_fma_f64 v[72:73], v[21:22], v[156:157], -v[7:8]
	v_mul_f64_e32 v[7:8], v[156:157], v[23:24]
	v_mul_f64_e32 v[23:24], v[170:171], v[35:36]
	v_fma_f64 v[2:3], v[9:10], v[150:151], v[2:3]
	s_delay_alu instid0(VALU_DEP_3) | instskip(NEXT) | instid1(VALU_DEP_3)
	v_fma_f64 v[7:8], v[21:22], v[158:159], v[7:8]
	v_fma_f64 v[74:75], v[33:34], v[168:169], -v[23:24]
	v_mul_f64_e32 v[23:24], v[168:169], v[35:36]
	v_mul_f64_e32 v[35:36], v[180:181], v[47:48]
	scratch_store_b64 off, v[2:3], off offset:116 ; 8-byte Folded Spill
	v_mul_f64_e32 v[2:3], v[150:151], v[11:12]
	v_mul_f64_e32 v[11:12], v[162:163], v[27:28]
	v_fma_f64 v[61:62], v[33:34], v[170:171], v[23:24]
	v_fma_f64 v[106:107], v[45:46], v[182:183], v[35:36]
	v_mul_f64_e32 v[33:34], v[178:179], v[43:44]
	v_fma_f64 v[2:3], v[9:10], v[114:115], -v[2:3]
	v_fma_f64 v[21:22], v[25:26], v[160:161], -v[11:12]
	v_mul_f64_e32 v[11:12], v[160:161], v[27:28]
	v_mul_f64_e32 v[27:28], v[172:173], v[39:40]
	;; [unrolled: 1-line block ×3, first 2 shown]
	v_fma_f64 v[104:105], v[41:42], v[176:177], -v[33:34]
	v_mul_f64_e32 v[33:34], s[44:45], v[252:253]
	scratch_store_b64 off, v[2:3], off offset:108 ; 8-byte Folded Spill
	v_mul_f64_e32 v[2:3], v[154:155], v[15:16]
	v_fma_f64 v[98:99], v[37:38], v[174:175], v[27:28]
	s_delay_alu instid0(VALU_DEP_2) | instskip(SKIP_2) | instid1(VALU_DEP_2)
	v_fma_f64 v[65:66], v[13:14], v[152:153], -v[2:3]
	v_mul_f64_e32 v[2:3], v[152:153], v[15:16]
	v_mul_f64_e32 v[15:16], v[166:167], v[31:32]
	v_fma_f64 v[57:58], v[13:14], v[154:155], v[2:3]
	v_fma_f64 v[12:13], v[25:26], v[162:163], v[11:12]
	s_delay_alu instid0(VALU_DEP_3) | instskip(SKIP_2) | instid1(VALU_DEP_2)
	v_fma_f64 v[25:26], v[29:30], v[164:165], -v[15:16]
	v_mul_f64_e32 v[15:16], v[164:165], v[31:32]
	v_mul_f64_e32 v[31:32], v[176:177], v[43:44]
	v_fma_f64 v[15:16], v[29:30], v[166:167], v[15:16]
	v_mul_f64_e32 v[29:30], v[174:175], v[39:40]
	s_delay_alu instid0(VALU_DEP_3) | instskip(SKIP_1) | instid1(VALU_DEP_3)
	v_fma_f64 v[102:103], v[41:42], v[178:179], v[31:32]
	v_mul_f64_e32 v[41:42], v[188:189], v[124:125]
	v_fma_f64 v[39:40], v[37:38], v[172:173], -v[29:30]
	v_mul_f64_e32 v[37:38], v[182:183], v[47:48]
	s_delay_alu instid0(VALU_DEP_3) | instskip(SKIP_2) | instid1(VALU_DEP_4)
	v_fma_f64 v[230:231], v[122:123], v[190:191], v[41:42]
	v_mul_f64_e32 v[41:42], v[190:191], v[124:125]
	v_add_f64_e64 v[190:191], v[78:79], -v[82:83]
	v_fma_f64 v[246:247], v[45:46], v[180:181], -v[37:38]
	v_mul_f64_e32 v[37:38], v[184:185], v[120:121]
	v_mul_f64_e32 v[45:46], v[192:193], v[128:129]
	v_fma_f64 v[122:123], v[122:123], v[188:189], -v[41:42]
	s_delay_alu instid0(VALU_DEP_3) | instskip(SKIP_1) | instid1(VALU_DEP_4)
	v_fma_f64 v[166:167], v[118:119], v[186:187], v[37:38]
	v_mul_f64_e32 v[37:38], v[186:187], v[120:121]
	v_fma_f64 v[2:3], v[126:127], v[194:195], v[45:46]
	v_mul_f64_e32 v[45:46], v[194:195], v[128:129]
	v_add_f64_e32 v[186:187], v[84:85], v[88:89]
	s_delay_alu instid0(VALU_DEP_4)
	v_fma_f64 v[120:121], v[118:119], v[184:185], -v[37:38]
	scratch_store_b64 off, v[2:3], off offset:660 ; 8-byte Folded Spill
	v_fma_f64 v[2:3], v[126:127], v[192:193], -v[45:46]
	v_mul_f64_e32 v[118:119], v[196:197], v[132:133]
	v_add_f64_e64 v[126:127], v[236:237], -v[232:233]
	v_mul_f64_e32 v[35:36], s[12:13], v[186:187]
	scratch_store_b64 off, v[2:3], off offset:652 ; 8-byte Folded Spill
	v_fma_f64 v[2:3], v[130:131], v[198:199], v[118:119]
	v_mul_f64_e32 v[118:119], v[198:199], v[132:133]
	scratch_store_b64 off, v[2:3], off offset:580 ; 8-byte Folded Spill
	v_fma_f64 v[2:3], v[130:131], v[196:197], -v[118:119]
	v_mul_f64_e32 v[118:119], v[202:203], v[136:137]
	v_add_f64_e64 v[130:131], v[226:227], -v[222:223]
	scratch_store_b64 off, v[2:3], off offset:572 ; 8-byte Folded Spill
	v_fma_f64 v[2:3], v[134:135], v[204:205], v[118:119]
	v_mul_f64_e32 v[118:119], v[204:205], v[136:137]
	scratch_store_b64 off, v[2:3], off offset:564 ; 8-byte Folded Spill
	v_fma_f64 v[2:3], v[134:135], v[202:203], -v[118:119]
	v_mul_f64_e32 v[118:119], v[206:207], v[140:141]
	scratch_store_b64 off, v[2:3], off offset:556 ; 8-byte Folded Spill
	v_fma_f64 v[2:3], v[138:139], v[208:209], v[118:119]
	v_mul_f64_e32 v[118:119], v[208:209], v[140:141]
	scratch_store_b64 off, v[2:3], off offset:492 ; 8-byte Folded Spill
	v_fma_f64 v[2:3], v[138:139], v[206:207], -v[118:119]
	v_mul_f64_e32 v[118:119], v[210:211], v[144:145]
	;; [unrolled: 6-line block ×3, first 2 shown]
	scratch_store_b64 off, v[2:3], off offset:292 ; 8-byte Folded Spill
	v_fma_f64 v[2:3], v[146:147], v[0:1], v[118:119]
	v_mul_f64_e32 v[0:1], v[0:1], v[148:149]
	scratch_store_b64 off, v[2:3], off offset:180 ; 8-byte Folded Spill
	v_fma_f64 v[0:1], v[146:147], v[214:215], -v[0:1]
	v_dual_mov_b32 v2, v70 :: v_dual_mov_b32 v3, v71
	s_clause 0x2
	scratch_store_b64 off, v[0:1], off offset:172
	scratch_store_b64 off, v[228:229], off offset:124
	;; [unrolled: 1-line block ×3, first 2 shown]
	v_mul_f64_e32 v[0:1], s[18:19], v[248:249]
	v_add_f64_e32 v[250:251], v[224:225], v[2:3]
	s_clause 0x1
	scratch_store_b64 off, v[232:233], off offset:132
	scratch_store_b64 off, v[236:237], off offset:204
	v_mov_b32_e32 v71, v255
	v_add_f64_e64 v[254:255], v[224:225], -v[2:3]
	v_add_f64_e32 v[69:70], v[92:93], v[59:60]
	v_add_f64_e32 v[234:235], v[76:77], v[80:81]
	scratch_store_b64 off, v[0:1], off offset:332 ; 8-byte Folded Spill
	v_fma_f64 v[0:1], v[126:127], s[36:37], v[0:1]
	v_mul_f64_e32 v[4:5], s[24:25], v[250:251]
	s_clause 0x3
	scratch_store_b64 off, v[2:3], off offset:140
	scratch_store_b64 off, v[224:225], off offset:212
	;; [unrolled: 1-line block ×4, first 2 shown]
	v_mul_f64_e32 v[2:3], s[30:31], v[254:255]
	v_mul_f64_e32 v[242:243], s[12:13], v[250:251]
	;; [unrolled: 1-line block ×5, first 2 shown]
	v_add_f64_e32 v[0:1], v[19:20], v[0:1]
	v_fma_f64 v[134:135], v[130:131], s[54:55], v[4:5]
	scratch_store_b64 off, v[4:5], off offset:340 ; 8-byte Folded Spill
	v_mul_f64_e32 v[4:5], s[26:27], v[252:253]
	scratch_store_b64 off, v[2:3], off offset:396 ; 8-byte Folded Spill
	v_add_f64_e32 v[0:1], v[134:135], v[0:1]
	v_add_f64_e32 v[134:135], v[236:237], v[232:233]
	s_clause 0x4
	scratch_store_b64 off, v[4:5], off offset:380
	scratch_store_b64 off, v[200:201], off offset:156
	;; [unrolled: 1-line block ×5, first 2 shown]
	v_mul_f64_e32 v[232:233], s[14:15], v[69:70]
	v_fma_f64 v[138:139], v[134:135], s[18:19], v[4:5]
	s_delay_alu instid0(VALU_DEP_1) | instskip(SKIP_1) | instid1(VALU_DEP_1)
	v_add_f64_e32 v[142:143], v[17:18], v[138:139]
	v_add_f64_e32 v[138:139], v[226:227], v[222:223]
	v_fma_f64 v[144:145], v[138:139], s[24:25], v[2:3]
	v_mul_f64_e32 v[2:3], s[28:29], v[244:245]
	s_delay_alu instid0(VALU_DEP_2) | instskip(SKIP_4) | instid1(VALU_DEP_2)
	v_add_f64_e32 v[146:147], v[144:145], v[142:143]
	v_add_f64_e64 v[142:143], v[220:221], -v[216:217]
	scratch_store_b64 off, v[2:3], off offset:412 ; 8-byte Folded Spill
	v_fma_f64 v[148:149], v[142:143], s[48:49], v[2:3]
	v_mul_f64_e32 v[2:3], s[40:41], v[49:50]
	v_add_f64_e32 v[0:1], v[148:149], v[0:1]
	v_add_f64_e32 v[148:149], v[220:221], v[216:217]
	scratch_store_b64 off, v[2:3], off offset:444 ; 8-byte Folded Spill
	v_fma_f64 v[150:151], v[148:149], s[28:29], v[2:3]
	v_dual_mov_b32 v2, v52 :: v_dual_mov_b32 v3, v53
	s_clause 0x1
	scratch_store_b64 off, v[2:3], off offset:196
	scratch_store_b64 off, v[110:111], off offset:268
	v_add_f64_e32 v[51:52], v[110:111], v[2:3]
	v_add_f64_e64 v[53:54], v[110:111], -v[2:3]
	s_clause 0x1
	scratch_store_b64 off, v[108:109], off offset:220
	scratch_store_b64 off, v[112:113], off offset:276
	v_mul_f64_e32 v[110:111], s[0:1], v[244:245]
	v_add_f64_e32 v[158:159], v[150:151], v[146:147]
	v_add_f64_e64 v[146:147], v[112:113], -v[108:109]
	v_mul_f64_e32 v[4:5], s[16:17], v[51:52]
	v_mul_f64_e32 v[2:3], s[46:47], v[53:54]
	;; [unrolled: 1-line block ×3, first 2 shown]
	s_delay_alu instid0(VALU_DEP_3)
	v_fma_f64 v[154:155], v[146:147], s[60:61], v[4:5]
	s_clause 0x1
	scratch_store_b64 off, v[4:5], off offset:452
	scratch_store_b64 off, v[2:3], off offset:468
	v_dual_mov_b32 v4, v63 :: v_dual_mov_b32 v5, v64
	v_add_f64_e32 v[0:1], v[154:155], v[0:1]
	v_add_f64_e32 v[154:155], v[112:113], v[108:109]
	v_mul_f64_e32 v[112:113], s[50:51], v[53:54]
	v_mul_f64_e32 v[108:109], s[14:15], v[51:52]
	s_delay_alu instid0(VALU_DEP_3)
	v_fma_f64 v[160:161], v[154:155], s[16:17], v[2:3]
	v_dual_mov_b32 v2, v55 :: v_dual_mov_b32 v3, v56
	s_clause 0x1
	scratch_store_b64 off, v[2:3], off offset:252
	scratch_store_b64 off, v[96:97], off offset:308
	v_add_f64_e32 v[55:56], v[96:97], v[2:3]
	v_add_f64_e64 v[63:64], v[96:97], -v[2:3]
	s_clause 0x1
	scratch_store_b64 off, v[4:5], off offset:260
	scratch_store_b64 off, v[100:101], off offset:324
	v_add_f64_e32 v[170:171], v[160:161], v[158:159]
	v_add_f64_e64 v[158:159], v[100:101], -v[4:5]
	v_mul_f64_e32 v[9:10], s[14:15], v[55:56]
	v_mul_f64_e32 v[2:3], s[44:45], v[63:64]
	;; [unrolled: 1-line block ×3, first 2 shown]
	s_delay_alu instid0(VALU_DEP_3)
	v_fma_f64 v[164:165], v[158:159], s[50:51], v[9:10]
	s_clause 0x1
	scratch_store_b64 off, v[9:10], off offset:476
	scratch_store_b64 off, v[2:3], off offset:500
	v_add_f64_e64 v[10:11], v[92:93], -v[59:60]
	s_clause 0x3
	scratch_store_b64 off, v[59:60], off offset:284
	scratch_store_b64 off, v[92:93], off offset:348
	;; [unrolled: 1-line block ×4, first 2 shown]
	v_add_f64_e32 v[0:1], v[164:165], v[0:1]
	v_add_f64_e32 v[164:165], v[100:101], v[4:5]
	v_add_f64_e64 v[4:5], v[84:85], -v[88:89]
	v_mul_f64_e32 v[100:101], s[14:15], v[244:245]
	v_mul_f64_e32 v[45:46], s[38:39], v[10:11]
	s_delay_alu instid0(VALU_DEP_4) | instskip(SKIP_2) | instid1(VALU_DEP_3)
	v_fma_f64 v[172:173], v[164:165], s[14:15], v[2:3]
	v_mul_f64_e32 v[2:3], s[12:13], v[69:70]
	v_mul_f64_e32 v[41:42], s[58:59], v[4:5]
	v_add_f64_e32 v[178:179], v[172:173], v[170:171]
	v_add_f64_e64 v[170:171], v[94:95], -v[67:68]
	scratch_store_b64 off, v[2:3], off offset:508 ; 8-byte Folded Spill
	v_fma_f64 v[174:175], v[170:171], s[58:59], v[2:3]
	v_mul_f64_e32 v[2:3], s[42:43], v[10:11]
	s_delay_alu instid0(VALU_DEP_2)
	v_add_f64_e32 v[0:1], v[174:175], v[0:1]
	v_add_f64_e32 v[174:175], v[94:95], v[67:68]
	s_clause 0x4
	scratch_store_b64 off, v[2:3], off offset:516
	scratch_store_b64 off, v[84:85], off offset:388
	;; [unrolled: 1-line block ×5, first 2 shown]
	v_fma_f64 v[59:60], v[174:175], s[12:13], v[2:3]
	v_mul_f64_e32 v[2:3], s[10:11], v[186:187]
	s_delay_alu instid0(VALU_DEP_2) | instskip(SKIP_1) | instid1(VALU_DEP_1)
	v_add_f64_e32 v[59:60], v[59:60], v[178:179]
	v_add_f64_e64 v[178:179], v[86:87], -v[90:91]
	v_fma_f64 v[182:183], v[178:179], s[52:53], v[2:3]
	s_delay_alu instid0(VALU_DEP_1)
	v_add_f64_e32 v[202:203], v[182:183], v[0:1]
	v_add_f64_e32 v[182:183], v[86:87], v[90:91]
	v_mul_f64_e32 v[0:1], s[38:39], v[4:5]
	scratch_store_b64 off, v[2:3], off offset:524 ; 8-byte Folded Spill
	v_add_f64_e64 v[2:3], v[76:77], -v[80:81]
	scratch_store_b64 off, v[0:1], off offset:532 ; 8-byte Folded Spill
	v_fma_f64 v[184:185], v[182:183], s[10:11], v[0:1]
	v_mul_f64_e32 v[0:1], s[34:35], v[2:3]
	s_clause 0x3
	scratch_store_b64 off, v[76:77], off offset:436
	scratch_store_b64 off, v[80:81], off offset:420
	;; [unrolled: 1-line block ×4, first 2 shown]
	v_fma_f64 v[80:81], v[154:155], s[14:15], v[112:113]
	v_mul_f64_e32 v[37:38], s[54:55], v[2:3]
	v_add_f64_e32 v[59:60], v[184:185], v[59:60]
	v_add_f64_e32 v[184:185], v[78:79], v[82:83]
	scratch_store_b64 off, v[0:1], off offset:540 ; 8-byte Folded Spill
	v_fma_f64 v[78:79], v[146:147], s[44:45], v[108:109]
	v_fma_f64 v[67:68], v[184:185], s[0:1], v[0:1]
	v_mul_f64_e32 v[0:1], s[0:1], v[234:235]
	s_delay_alu instid0(VALU_DEP_2) | instskip(NEXT) | instid1(VALU_DEP_2)
	v_add_f64_e32 v[59:60], v[67:68], v[59:60]
	v_fma_f64 v[67:68], v[190:191], s[56:57], v[0:1]
	scratch_store_b64 off, v[0:1], off offset:548 ; 8-byte Folded Spill
	v_mul_f64_e32 v[0:1], s[24:25], v[248:249]
	v_add_f64_e32 v[67:68], v[67:68], v[202:203]
	v_mul_f64_e32 v[202:203], v[59:60], v[57:58]
	scratch_store_b64 off, v[0:1], off offset:612 ; 8-byte Folded Spill
	v_mul_f64_e32 v[57:58], v[67:68], v[57:58]
	v_fma_f64 v[29:30], v[67:68], v[65:66], v[202:203]
	v_mul_f64_e32 v[67:68], s[10:11], v[69:70]
	s_delay_alu instid0(VALU_DEP_3) | instskip(SKIP_3) | instid1(VALU_DEP_3)
	v_fma_f64 v[27:28], v[59:60], v[65:66], -v[57:58]
	v_fma_f64 v[57:58], v[126:127], s[54:55], v[0:1]
	v_mul_f64_e32 v[0:1], s[16:17], v[250:251]
	v_mul_f64_e32 v[65:66], s[16:17], v[248:249]
	v_add_f64_e32 v[57:58], v[19:20], v[57:58]
	scratch_store_b64 off, v[0:1], off offset:620 ; 8-byte Folded Spill
	v_fma_f64 v[59:60], v[130:131], s[60:61], v[0:1]
	v_mul_f64_e32 v[0:1], s[30:31], v[252:253]
	s_delay_alu instid0(VALU_DEP_2) | instskip(SKIP_3) | instid1(VALU_DEP_2)
	v_add_f64_e32 v[57:58], v[59:60], v[57:58]
	scratch_store_b64 off, v[0:1], off offset:588 ; 8-byte Folded Spill
	v_fma_f64 v[59:60], v[134:135], s[24:25], v[0:1]
	v_mul_f64_e32 v[0:1], s[46:47], v[254:255]
	v_add_f64_e32 v[59:60], v[17:18], v[59:60]
	scratch_store_b64 off, v[0:1], off offset:596 ; 8-byte Folded Spill
	v_fma_f64 v[206:207], v[138:139], s[16:17], v[0:1]
	v_mul_f64_e32 v[0:1], s[12:13], v[244:245]
	s_delay_alu instid0(VALU_DEP_2) | instskip(SKIP_3) | instid1(VALU_DEP_2)
	v_add_f64_e32 v[59:60], v[206:207], v[59:60]
	scratch_store_b64 off, v[0:1], off offset:644 ; 8-byte Folded Spill
	v_fma_f64 v[206:207], v[142:143], s[58:59], v[0:1]
	;; [unrolled: 9-line block ×4, first 2 shown]
	v_mul_f64_e32 v[0:1], s[52:53], v[63:64]
	v_add_f64_e32 v[57:58], v[214:215], v[57:58]
	scratch_store_b64 off, v[0:1], off offset:636 ; 8-byte Folded Spill
	v_fma_f64 v[218:219], v[164:165], s[10:11], v[0:1]
	v_mul_f64_e32 v[0:1], s[50:51], v[10:11]
	s_delay_alu instid0(VALU_DEP_2) | instskip(SKIP_4) | instid1(VALU_DEP_3)
	v_add_f64_e32 v[59:60], v[218:219], v[59:60]
	scratch_store_b64 off, v[0:1], off offset:668 ; 8-byte Folded Spill
	v_fma_f64 v[220:221], v[174:175], s[14:15], v[0:1]
	v_mul_f64_e32 v[0:1], s[28:29], v[186:187]
	v_fma_f64 v[218:219], v[170:171], s[44:45], v[232:233]
	v_add_f64_e32 v[59:60], v[220:221], v[59:60]
	scratch_store_b64 off, v[0:1], off offset:676 ; 8-byte Folded Spill
	v_fma_f64 v[224:225], v[178:179], s[40:41], v[0:1]
	v_mul_f64_e32 v[0:1], s[48:49], v[4:5]
	v_add_f64_e32 v[57:58], v[218:219], v[57:58]
	scratch_store_b64 off, v[0:1], off offset:692 ; 8-byte Folded Spill
	v_fma_f64 v[226:227], v[182:183], s[28:29], v[0:1]
	v_mul_f64_e32 v[0:1], s[36:37], v[2:3]
	v_add_f64_e32 v[57:58], v[224:225], v[57:58]
	s_delay_alu instid0(VALU_DEP_3) | instskip(NEXT) | instid1(VALU_DEP_3)
	v_add_f64_e32 v[59:60], v[226:227], v[59:60]
	v_fma_f64 v[228:229], v[184:185], s[18:19], v[0:1]
	scratch_store_b64 off, v[0:1], off offset:700 ; 8-byte Folded Spill
	v_add_f64_e32 v[236:237], v[228:229], v[59:60]
	v_mul_f64_e32 v[228:229], s[18:19], v[234:235]
	s_delay_alu instid0(VALU_DEP_1) | instskip(NEXT) | instid1(VALU_DEP_1)
	v_fma_f64 v[59:60], v[190:191], s[26:27], v[228:229]
	v_add_f64_e32 v[57:58], v[59:60], v[57:58]
	s_delay_alu instid0(VALU_DEP_4) | instskip(NEXT) | instid1(VALU_DEP_2)
	v_mul_f64_e32 v[59:60], v[236:237], v[7:8]
	v_mul_f64_e32 v[6:7], v[57:58], v[7:8]
	s_delay_alu instid0(VALU_DEP_2) | instskip(SKIP_2) | instid1(VALU_DEP_4)
	v_fma_f64 v[8:9], v[57:58], v[72:73], v[59:60]
	v_mul_f64_e32 v[57:58], s[36:37], v[53:54]
	v_mul_f64_e32 v[59:60], s[28:29], v[55:56]
	v_fma_f64 v[6:7], v[236:237], v[72:73], -v[6:7]
	v_fma_f64 v[236:237], v[134:135], s[28:29], v[114:115]
	scratch_store_b128 off, v[27:30], off offset:4 ; 16-byte Folded Spill
	v_mul_f64_e32 v[27:28], s[14:15], v[248:249]
	v_mul_f64_e32 v[29:30], s[54:55], v[49:50]
	scratch_store_b128 off, v[6:9], off offset:20 ; 16-byte Folded Spill
	v_fma_f64 v[6:7], v[126:127], s[48:49], v[240:241]
	v_add_f64_e32 v[238:239], v[17:18], v[236:237]
	v_mul_f64_e32 v[236:237], s[42:43], v[254:255]
	v_fma_f64 v[8:9], v[130:131], s[58:59], v[242:243]
	s_delay_alu instid0(VALU_DEP_4) | instskip(NEXT) | instid1(VALU_DEP_3)
	v_add_f64_e32 v[6:7], v[19:20], v[6:7]
	v_fma_f64 v[72:73], v[138:139], s[12:13], v[236:237]
	s_delay_alu instid0(VALU_DEP_2) | instskip(NEXT) | instid1(VALU_DEP_2)
	v_add_f64_e32 v[8:9], v[8:9], v[6:7]
	v_add_f64_e32 v[72:73], v[72:73], v[238:239]
	v_fma_f64 v[238:239], v[142:143], s[34:35], v[110:111]
	s_delay_alu instid0(VALU_DEP_1) | instskip(SKIP_1) | instid1(VALU_DEP_2)
	v_add_f64_e32 v[8:9], v[238:239], v[8:9]
	v_mul_f64_e32 v[238:239], s[56:57], v[49:50]
	v_add_f64_e32 v[8:9], v[78:79], v[8:9]
	s_delay_alu instid0(VALU_DEP_2) | instskip(SKIP_1) | instid1(VALU_DEP_2)
	v_fma_f64 v[76:77], v[148:149], s[0:1], v[238:239]
	v_mul_f64_e32 v[78:79], s[34:35], v[254:255]
	v_add_f64_e32 v[72:73], v[76:77], v[72:73]
	v_mul_f64_e32 v[76:77], s[50:51], v[49:50]
	s_delay_alu instid0(VALU_DEP_2) | instskip(SKIP_1) | instid1(VALU_DEP_1)
	v_add_f64_e32 v[72:73], v[80:81], v[72:73]
	v_mul_f64_e32 v[80:81], s[24:25], v[55:56]
	v_fma_f64 v[82:83], v[158:159], s[30:31], v[80:81]
	s_delay_alu instid0(VALU_DEP_1) | instskip(SKIP_1) | instid1(VALU_DEP_1)
	v_add_f64_e32 v[8:9], v[82:83], v[8:9]
	v_mul_f64_e32 v[82:83], s[54:55], v[63:64]
	v_fma_f64 v[84:85], v[164:165], s[24:25], v[82:83]
	s_delay_alu instid0(VALU_DEP_1) | instskip(SKIP_1) | instid1(VALU_DEP_1)
	;; [unrolled: 4-line block ×7, first 2 shown]
	v_add_f64_e32 v[72:73], v[94:95], v[72:73]
	v_mul_f64_e32 v[94:95], s[10:11], v[234:235]
	v_fma_f64 v[96:97], v[190:191], s[52:53], v[94:95]
	s_delay_alu instid0(VALU_DEP_1) | instskip(NEXT) | instid1(VALU_DEP_4)
	v_add_f64_e32 v[8:9], v[96:97], v[8:9]
	v_mul_f64_e32 v[96:97], v[72:73], v[12:13]
	s_delay_alu instid0(VALU_DEP_2) | instskip(NEXT) | instid1(VALU_DEP_2)
	v_mul_f64_e32 v[0:1], v[8:9], v[12:13]
	v_fma_f64 v[8:9], v[8:9], v[21:22], v[96:97]
	v_mul_f64_e32 v[96:97], s[46:47], v[252:253]
	s_delay_alu instid0(VALU_DEP_3)
	v_fma_f64 v[6:7], v[72:73], v[21:22], -v[0:1]
	v_fma_f64 v[0:1], v[126:127], s[60:61], v[65:66]
	v_mul_f64_e32 v[72:73], s[0:1], v[250:251]
	v_fma_f64 v[21:22], v[138:139], s[0:1], v[78:79]
	scratch_store_b128 off, v[6:9], off offset:36 ; 16-byte Folded Spill
	v_add_f64_e32 v[0:1], v[19:20], v[0:1]
	v_fma_f64 v[12:13], v[130:131], s[56:57], v[72:73]
	s_delay_alu instid0(VALU_DEP_1) | instskip(SKIP_1) | instid1(VALU_DEP_1)
	v_add_f64_e32 v[0:1], v[12:13], v[0:1]
	v_fma_f64 v[12:13], v[134:135], s[16:17], v[96:97]
	v_add_f64_e32 v[12:13], v[17:18], v[12:13]
	s_delay_alu instid0(VALU_DEP_1) | instskip(SKIP_1) | instid1(VALU_DEP_1)
	v_add_f64_e32 v[12:13], v[21:22], v[12:13]
	v_fma_f64 v[21:22], v[142:143], s[44:45], v[100:101]
	v_add_f64_e32 v[0:1], v[21:22], v[0:1]
	v_fma_f64 v[21:22], v[148:149], s[14:15], v[76:77]
	s_delay_alu instid0(VALU_DEP_1) | instskip(SKIP_1) | instid1(VALU_DEP_1)
	v_add_f64_e32 v[12:13], v[21:22], v[12:13]
	v_fma_f64 v[21:22], v[146:147], s[26:27], v[43:44]
	v_add_f64_e32 v[0:1], v[21:22], v[0:1]
	v_fma_f64 v[21:22], v[154:155], s[18:19], v[57:58]
	;; [unrolled: 5-line block ×6, first 2 shown]
	s_delay_alu instid0(VALU_DEP_1) | instskip(NEXT) | instid1(VALU_DEP_3)
	v_add_f64_e32 v[0:1], v[21:22], v[0:1]
	v_mul_f64_e32 v[21:22], v[12:13], v[15:16]
	s_delay_alu instid0(VALU_DEP_2) | instskip(NEXT) | instid1(VALU_DEP_2)
	v_mul_f64_e32 v[14:15], v[0:1], v[15:16]
	v_fma_f64 v[8:9], v[0:1], v[25:26], v[21:22]
	v_mul_f64_e32 v[21:22], s[24:25], v[244:245]
	v_mul_f64_e32 v[0:1], s[14:15], v[234:235]
	s_delay_alu instid0(VALU_DEP_4)
	v_fma_f64 v[6:7], v[12:13], v[25:26], -v[14:15]
	v_fma_f64 v[12:13], v[126:127], s[50:51], v[27:28]
	v_fma_f64 v[14:15], v[130:131], s[38:39], v[23:24]
	;; [unrolled: 1-line block ×3, first 2 shown]
	scratch_store_b128 off, v[6:9], off offset:52 ; 16-byte Folded Spill
	v_add_f64_e32 v[12:13], v[19:20], v[12:13]
	s_delay_alu instid0(VALU_DEP_1) | instskip(SKIP_1) | instid1(VALU_DEP_1)
	v_add_f64_e32 v[12:13], v[14:15], v[12:13]
	v_fma_f64 v[14:15], v[134:135], s[14:15], v[33:34]
	v_add_f64_e32 v[14:15], v[17:18], v[14:15]
	s_delay_alu instid0(VALU_DEP_1) | instskip(SKIP_1) | instid1(VALU_DEP_1)
	v_add_f64_e32 v[14:15], v[25:26], v[14:15]
	v_fma_f64 v[25:26], v[142:143], s[30:31], v[21:22]
	v_add_f64_e32 v[12:13], v[25:26], v[12:13]
	v_fma_f64 v[25:26], v[148:149], s[24:25], v[29:30]
	s_delay_alu instid0(VALU_DEP_1) | instskip(SKIP_1) | instid1(VALU_DEP_1)
	v_add_f64_e32 v[14:15], v[25:26], v[14:15]
	v_mul_f64_e32 v[25:26], s[28:29], v[51:52]
	v_fma_f64 v[128:129], v[146:147], s[48:49], v[25:26]
	s_delay_alu instid0(VALU_DEP_1) | instskip(SKIP_1) | instid1(VALU_DEP_1)
	v_add_f64_e32 v[12:13], v[128:129], v[12:13]
	v_mul_f64_e32 v[128:129], s[40:41], v[53:54]
	;; [unrolled: 4-line block ×10, first 2 shown]
	v_fma_f64 v[162:163], v[190:191], s[58:59], v[160:161]
	s_delay_alu instid0(VALU_DEP_1) | instskip(NEXT) | instid1(VALU_DEP_4)
	v_add_f64_e32 v[12:13], v[162:163], v[12:13]
	v_mul_f64_e32 v[162:163], v[14:15], v[61:62]
	s_delay_alu instid0(VALU_DEP_2) | instskip(NEXT) | instid1(VALU_DEP_2)
	v_mul_f64_e32 v[61:62], v[12:13], v[61:62]
	v_fma_f64 v[8:9], v[12:13], v[74:75], v[162:163]
	v_mul_f64_e32 v[162:163], s[42:43], v[252:253]
	s_delay_alu instid0(VALU_DEP_3)
	v_fma_f64 v[6:7], v[14:15], v[74:75], -v[61:62]
	v_mul_f64_e32 v[61:62], s[12:13], v[248:249]
	v_mul_f64_e32 v[74:75], s[14:15], v[250:251]
	scratch_store_b128 off, v[6:9], off offset:68 ; 16-byte Folded Spill
	v_fma_f64 v[12:13], v[126:127], s[58:59], v[61:62]
	v_fma_f64 v[14:15], v[130:131], s[44:45], v[74:75]
	v_mul_f64_e32 v[8:9], s[50:51], v[254:255]
	v_mul_f64_e32 v[6:7], s[48:49], v[254:255]
	s_delay_alu instid0(VALU_DEP_4) | instskip(NEXT) | instid1(VALU_DEP_3)
	v_add_f64_e32 v[12:13], v[19:20], v[12:13]
	v_fma_f64 v[168:169], v[138:139], s[14:15], v[8:9]
	v_fma_f64 v[8:9], v[138:139], s[14:15], -v[8:9]
	s_delay_alu instid0(VALU_DEP_3) | instskip(SKIP_1) | instid1(VALU_DEP_1)
	v_add_f64_e32 v[12:13], v[14:15], v[12:13]
	v_fma_f64 v[14:15], v[134:135], s[12:13], v[162:163]
	v_add_f64_e32 v[14:15], v[17:18], v[14:15]
	s_delay_alu instid0(VALU_DEP_1) | instskip(SKIP_1) | instid1(VALU_DEP_1)
	v_add_f64_e32 v[14:15], v[168:169], v[14:15]
	v_mul_f64_e32 v[168:169], s[18:19], v[244:245]
	v_fma_f64 v[172:173], v[142:143], s[36:37], v[168:169]
	s_delay_alu instid0(VALU_DEP_1) | instskip(SKIP_1) | instid1(VALU_DEP_1)
	v_add_f64_e32 v[12:13], v[172:173], v[12:13]
	v_mul_f64_e32 v[172:173], s[26:27], v[49:50]
	v_fma_f64 v[176:177], v[148:149], s[18:19], v[172:173]
	;; [unrolled: 4-line block ×12, first 2 shown]
	s_delay_alu instid0(VALU_DEP_1) | instskip(NEXT) | instid1(VALU_DEP_4)
	v_add_f64_e32 v[12:13], v[204:205], v[12:13]
	v_mul_f64_e32 v[204:205], v[14:15], v[98:99]
	s_delay_alu instid0(VALU_DEP_2) | instskip(NEXT) | instid1(VALU_DEP_2)
	v_mul_f64_e32 v[98:99], v[12:13], v[98:99]
	v_fma_f64 v[206:207], v[12:13], v[39:40], v[204:205]
	s_delay_alu instid0(VALU_DEP_2)
	v_fma_f64 v[204:205], v[14:15], v[39:40], -v[98:99]
	v_mul_f64_e32 v[39:40], s[10:11], v[248:249]
	v_mul_f64_e32 v[98:99], s[28:29], v[250:251]
	scratch_store_b128 off, v[204:207], off offset:84 ; 16-byte Folded Spill
	v_fma_f64 v[12:13], v[126:127], s[52:53], v[39:40]
	v_fma_f64 v[14:15], v[130:131], s[40:41], v[98:99]
	v_mul_f64_e32 v[204:205], s[38:39], v[252:253]
	v_fma_f64 v[206:207], v[138:139], s[28:29], v[6:7]
	v_fma_f64 v[6:7], v[138:139], s[28:29], -v[6:7]
	v_add_f64_e32 v[12:13], v[19:20], v[12:13]
	s_delay_alu instid0(VALU_DEP_1) | instskip(SKIP_1) | instid1(VALU_DEP_1)
	v_add_f64_e32 v[12:13], v[14:15], v[12:13]
	v_fma_f64 v[14:15], v[134:135], s[10:11], v[204:205]
	v_add_f64_e32 v[14:15], v[17:18], v[14:15]
	s_delay_alu instid0(VALU_DEP_1) | instskip(SKIP_2) | instid1(VALU_DEP_2)
	v_add_f64_e32 v[14:15], v[206:207], v[14:15]
	v_mul_f64_e32 v[206:207], s[16:17], v[244:245]
	v_mul_f64_e32 v[244:245], s[10:11], v[244:245]
	v_fma_f64 v[208:209], v[142:143], s[60:61], v[206:207]
	s_delay_alu instid0(VALU_DEP_1) | instskip(SKIP_1) | instid1(VALU_DEP_1)
	v_add_f64_e32 v[12:13], v[208:209], v[12:13]
	v_mul_f64_e32 v[208:209], s[46:47], v[49:50]
	v_fma_f64 v[210:211], v[148:149], s[16:17], v[208:209]
	s_delay_alu instid0(VALU_DEP_1) | instskip(SKIP_1) | instid1(VALU_DEP_1)
	v_add_f64_e32 v[14:15], v[210:211], v[14:15]
	v_mul_f64_e32 v[210:211], s[12:13], v[51:52]
	v_fma_f64 v[212:213], v[146:147], s[42:43], v[210:211]
	s_delay_alu instid0(VALU_DEP_1) | instskip(SKIP_2) | instid1(VALU_DEP_2)
	v_add_f64_e32 v[12:13], v[212:213], v[12:13]
	v_mul_f64_e32 v[212:213], s[58:59], v[53:54]
	v_mul_f64_e32 v[53:54], s[54:55], v[53:54]
	v_fma_f64 v[214:215], v[154:155], s[12:13], v[212:213]
	s_delay_alu instid0(VALU_DEP_1) | instskip(SKIP_2) | instid1(VALU_DEP_2)
	v_add_f64_e32 v[14:15], v[214:215], v[14:15]
	v_mul_f64_e32 v[214:215], s[18:19], v[55:56]
	;; [unrolled: 5-line block ×8, first 2 shown]
	v_mul_f64_e32 v[2:3], s[60:61], v[2:3]
	v_fma_f64 v[226:227], v[184:185], s[14:15], v[224:225]
	s_delay_alu instid0(VALU_DEP_1) | instskip(SKIP_2) | instid1(VALU_DEP_2)
	v_add_f64_e32 v[226:227], v[226:227], v[14:15]
	v_fma_f64 v[14:15], v[190:191], s[50:51], v[0:1]
	v_fma_f64 v[0:1], v[190:191], s[44:45], v[0:1]
	v_add_f64_e32 v[12:13], v[14:15], v[12:13]
	s_delay_alu instid0(VALU_DEP_4) | instskip(NEXT) | instid1(VALU_DEP_2)
	v_mul_f64_e32 v[14:15], v[226:227], v[102:103]
	v_mul_f64_e32 v[102:103], v[12:13], v[102:103]
	s_delay_alu instid0(VALU_DEP_2) | instskip(NEXT) | instid1(VALU_DEP_2)
	v_fma_f64 v[14:15], v[12:13], v[104:105], v[14:15]
	v_fma_f64 v[12:13], v[226:227], v[104:105], -v[102:103]
	v_mul_f64_e32 v[102:103], s[0:1], v[248:249]
	v_mul_f64_e32 v[104:105], s[18:19], v[250:251]
	;; [unrolled: 1-line block ×3, first 2 shown]
	s_delay_alu instid0(VALU_DEP_3) | instskip(NEXT) | instid1(VALU_DEP_3)
	v_fma_f64 v[226:227], v[126:127], s[56:57], v[102:103]
	v_fma_f64 v[248:249], v[130:131], s[26:27], v[104:105]
	s_delay_alu instid0(VALU_DEP_3) | instskip(SKIP_3) | instid1(VALU_DEP_3)
	v_fma_f64 v[254:255], v[138:139], s[18:19], v[250:251]
	v_fma_f64 v[102:103], v[126:127], s[34:35], v[102:103]
	v_fma_f64 v[104:105], v[130:131], s[36:37], v[104:105]
	v_add_f64_e32 v[226:227], v[19:20], v[226:227]
	v_add_f64_e32 v[102:103], v[19:20], v[102:103]
	s_delay_alu instid0(VALU_DEP_2) | instskip(SKIP_1) | instid1(VALU_DEP_3)
	v_add_f64_e32 v[226:227], v[248:249], v[226:227]
	v_mul_f64_e32 v[248:249], s[34:35], v[252:253]
	v_add_f64_e32 v[102:103], v[104:105], v[102:103]
	s_delay_alu instid0(VALU_DEP_2) | instskip(SKIP_1) | instid1(VALU_DEP_2)
	v_fma_f64 v[252:253], v[134:135], s[0:1], v[248:249]
	v_fma_f64 v[104:105], v[134:135], s[0:1], -v[248:249]
	v_add_f64_e32 v[252:253], v[17:18], v[252:253]
	s_delay_alu instid0(VALU_DEP_2) | instskip(NEXT) | instid1(VALU_DEP_2)
	v_add_f64_e32 v[104:105], v[17:18], v[104:105]
	v_add_f64_e32 v[252:253], v[254:255], v[252:253]
	v_fma_f64 v[254:255], v[142:143], s[52:53], v[244:245]
	s_delay_alu instid0(VALU_DEP_1) | instskip(SKIP_1) | instid1(VALU_DEP_1)
	v_add_f64_e32 v[226:227], v[254:255], v[226:227]
	v_mul_f64_e32 v[254:255], s[38:39], v[49:50]
	v_fma_f64 v[49:50], v[148:149], s[10:11], v[254:255]
	s_delay_alu instid0(VALU_DEP_1) | instskip(SKIP_1) | instid1(VALU_DEP_1)
	v_add_f64_e32 v[49:50], v[49:50], v[252:253]
	v_mul_f64_e32 v[252:253], s[24:25], v[51:52]
	v_fma_f64 v[51:52], v[146:147], s[30:31], v[252:253]
	s_delay_alu instid0(VALU_DEP_1) | instskip(SKIP_2) | instid1(VALU_DEP_2)
	v_add_f64_e32 v[51:52], v[51:52], v[226:227]
	v_fma_f64 v[226:227], v[154:155], s[24:25], v[53:54]
	v_fma_f64 v[53:54], v[154:155], s[24:25], -v[53:54]
	v_add_f64_e32 v[49:50], v[226:227], v[49:50]
	v_fma_f64 v[226:227], v[158:159], s[58:59], v[55:56]
	v_fma_f64 v[55:56], v[158:159], s[42:43], v[55:56]
	s_delay_alu instid0(VALU_DEP_2) | instskip(SKIP_2) | instid1(VALU_DEP_2)
	v_add_f64_e32 v[51:52], v[226:227], v[51:52]
	v_fma_f64 v[226:227], v[164:165], s[12:13], v[63:64]
	v_fma_f64 v[63:64], v[164:165], s[12:13], -v[63:64]
	v_add_f64_e32 v[49:50], v[226:227], v[49:50]
	v_fma_f64 v[226:227], v[170:171], s[40:41], v[69:70]
	s_delay_alu instid0(VALU_DEP_1) | instskip(SKIP_2) | instid1(VALU_DEP_2)
	v_add_f64_e32 v[51:52], v[226:227], v[51:52]
	v_fma_f64 v[226:227], v[174:175], s[28:29], v[10:11]
	v_fma_f64 v[10:11], v[174:175], s[28:29], -v[10:11]
	v_add_f64_e32 v[49:50], v[226:227], v[49:50]
	v_fma_f64 v[226:227], v[178:179], s[50:51], v[186:187]
	s_delay_alu instid0(VALU_DEP_1) | instskip(SKIP_2) | instid1(VALU_DEP_2)
	v_add_f64_e32 v[51:52], v[226:227], v[51:52]
	v_fma_f64 v[226:227], v[182:183], s[14:15], v[4:5]
	v_fma_f64 v[4:5], v[182:183], s[14:15], -v[4:5]
	v_add_f64_e32 v[49:50], v[226:227], v[49:50]
	v_fma_f64 v[226:227], v[184:185], s[16:17], v[2:3]
	v_fma_f64 v[2:3], v[184:185], s[16:17], -v[2:3]
	s_delay_alu instid0(VALU_DEP_2) | instskip(SKIP_1) | instid1(VALU_DEP_1)
	v_add_f64_e32 v[49:50], v[226:227], v[49:50]
	v_mul_f64_e32 v[226:227], s[16:17], v[234:235]
	v_fma_f64 v[234:235], v[190:191], s[46:47], v[226:227]
	s_delay_alu instid0(VALU_DEP_1) | instskip(NEXT) | instid1(VALU_DEP_4)
	v_add_f64_e32 v[51:52], v[234:235], v[51:52]
	v_mul_f64_e32 v[234:235], v[49:50], v[106:107]
	s_delay_alu instid0(VALU_DEP_2) | instskip(NEXT) | instid1(VALU_DEP_2)
	v_mul_f64_e32 v[106:107], v[51:52], v[106:107]
	v_fma_f64 v[51:52], v[51:52], v[246:247], v[234:235]
	s_delay_alu instid0(VALU_DEP_2) | instskip(SKIP_1) | instid1(VALU_DEP_1)
	v_fma_f64 v[49:50], v[49:50], v[246:247], -v[106:107]
	v_fma_f64 v[106:107], v[138:139], s[18:19], -v[250:251]
	v_add_f64_e32 v[104:105], v[106:107], v[104:105]
	v_fma_f64 v[106:107], v[142:143], s[38:39], v[244:245]
	s_delay_alu instid0(VALU_DEP_1) | instskip(SKIP_1) | instid1(VALU_DEP_1)
	v_add_f64_e32 v[102:103], v[106:107], v[102:103]
	v_fma_f64 v[106:107], v[148:149], s[10:11], -v[254:255]
	v_add_f64_e32 v[104:105], v[106:107], v[104:105]
	v_fma_f64 v[106:107], v[146:147], s[54:55], v[252:253]
	s_delay_alu instid0(VALU_DEP_2) | instskip(NEXT) | instid1(VALU_DEP_2)
	v_add_f64_e32 v[53:54], v[53:54], v[104:105]
	v_add_f64_e32 v[102:103], v[106:107], v[102:103]
	s_delay_alu instid0(VALU_DEP_2) | instskip(NEXT) | instid1(VALU_DEP_2)
	v_add_f64_e32 v[53:54], v[63:64], v[53:54]
	v_add_f64_e32 v[55:56], v[55:56], v[102:103]
	v_fma_f64 v[63:64], v[170:171], s[48:49], v[69:70]
	s_delay_alu instid0(VALU_DEP_3) | instskip(SKIP_1) | instid1(VALU_DEP_3)
	v_add_f64_e32 v[10:11], v[10:11], v[53:54]
	v_fma_f64 v[53:54], v[178:179], s[44:45], v[186:187]
	v_add_f64_e32 v[55:56], v[63:64], v[55:56]
	s_delay_alu instid0(VALU_DEP_3) | instskip(NEXT) | instid1(VALU_DEP_2)
	v_add_f64_e32 v[4:5], v[4:5], v[10:11]
	v_add_f64_e32 v[53:54], v[53:54], v[55:56]
	s_delay_alu instid0(VALU_DEP_2) | instskip(SKIP_1) | instid1(VALU_DEP_2)
	v_add_f64_e32 v[2:3], v[2:3], v[4:5]
	v_fma_f64 v[4:5], v[190:191], s[60:61], v[226:227]
	v_mul_f64_e32 v[10:11], v[2:3], v[166:167]
	s_delay_alu instid0(VALU_DEP_2) | instskip(NEXT) | instid1(VALU_DEP_1)
	v_add_f64_e32 v[4:5], v[4:5], v[53:54]
	v_mul_f64_e32 v[53:54], v[4:5], v[166:167]
	s_delay_alu instid0(VALU_DEP_3) | instskip(SKIP_2) | instid1(VALU_DEP_4)
	v_fma_f64 v[4:5], v[4:5], v[120:121], v[10:11]
	v_fma_f64 v[10:11], v[126:127], s[38:39], v[39:40]
	;; [unrolled: 1-line block ×3, first 2 shown]
	v_fma_f64 v[2:3], v[2:3], v[120:121], -v[53:54]
	s_delay_alu instid0(VALU_DEP_3) | instskip(NEXT) | instid1(VALU_DEP_1)
	v_add_f64_e32 v[10:11], v[19:20], v[10:11]
	v_add_f64_e32 v[10:11], v[39:40], v[10:11]
	v_fma_f64 v[39:40], v[134:135], s[10:11], -v[204:205]
	s_delay_alu instid0(VALU_DEP_1) | instskip(NEXT) | instid1(VALU_DEP_1)
	v_add_f64_e32 v[39:40], v[17:18], v[39:40]
	v_add_f64_e32 v[6:7], v[6:7], v[39:40]
	v_fma_f64 v[39:40], v[142:143], s[46:47], v[206:207]
	s_delay_alu instid0(VALU_DEP_1) | instskip(SKIP_1) | instid1(VALU_DEP_1)
	v_add_f64_e32 v[10:11], v[39:40], v[10:11]
	v_fma_f64 v[39:40], v[148:149], s[16:17], -v[208:209]
	v_add_f64_e32 v[6:7], v[39:40], v[6:7]
	v_fma_f64 v[39:40], v[146:147], s[58:59], v[210:211]
	s_delay_alu instid0(VALU_DEP_1) | instskip(SKIP_1) | instid1(VALU_DEP_1)
	v_add_f64_e32 v[10:11], v[39:40], v[10:11]
	v_fma_f64 v[39:40], v[154:155], s[12:13], -v[212:213]
	;; [unrolled: 5-line block ×4, first 2 shown]
	v_add_f64_e32 v[6:7], v[39:40], v[6:7]
	v_fma_f64 v[39:40], v[178:179], s[54:55], v[220:221]
	s_delay_alu instid0(VALU_DEP_1) | instskip(SKIP_1) | instid1(VALU_DEP_2)
	v_add_f64_e32 v[10:11], v[39:40], v[10:11]
	v_fma_f64 v[39:40], v[182:183], s[24:25], -v[222:223]
	v_add_f64_e32 v[0:1], v[0:1], v[10:11]
	s_delay_alu instid0(VALU_DEP_2) | instskip(SKIP_1) | instid1(VALU_DEP_1)
	v_add_f64_e32 v[6:7], v[39:40], v[6:7]
	v_fma_f64 v[39:40], v[184:185], s[14:15], -v[224:225]
	v_add_f64_e32 v[6:7], v[39:40], v[6:7]
	s_delay_alu instid0(VALU_DEP_4) | instskip(NEXT) | instid1(VALU_DEP_2)
	v_mul_f64_e32 v[39:40], v[0:1], v[230:231]
	v_mul_f64_e32 v[10:11], v[6:7], v[230:231]
	s_delay_alu instid0(VALU_DEP_2)
	v_fma_f64 v[53:54], v[6:7], v[122:123], -v[39:40]
	v_fma_f64 v[6:7], v[130:131], s[50:51], v[74:75]
	scratch_load_b64 v[39:40], off, off offset:652 th:TH_LOAD_LU ; 8-byte Folded Reload
	v_fma_f64 v[55:56], v[0:1], v[122:123], v[10:11]
	v_fma_f64 v[0:1], v[126:127], s[42:43], v[61:62]
	scratch_load_b64 v[10:11], off, off offset:660 th:TH_LOAD_LU ; 8-byte Folded Reload
	v_add_f64_e32 v[0:1], v[19:20], v[0:1]
	s_delay_alu instid0(VALU_DEP_1) | instskip(SKIP_1) | instid1(VALU_DEP_1)
	v_add_f64_e32 v[0:1], v[6:7], v[0:1]
	v_fma_f64 v[6:7], v[134:135], s[12:13], -v[162:163]
	v_add_f64_e32 v[6:7], v[17:18], v[6:7]
	s_delay_alu instid0(VALU_DEP_1) | instskip(SKIP_1) | instid1(VALU_DEP_1)
	v_add_f64_e32 v[6:7], v[8:9], v[6:7]
	v_fma_f64 v[8:9], v[142:143], s[26:27], v[168:169]
	v_add_f64_e32 v[0:1], v[8:9], v[0:1]
	v_fma_f64 v[8:9], v[148:149], s[18:19], -v[172:173]
	s_delay_alu instid0(VALU_DEP_1) | instskip(SKIP_1) | instid1(VALU_DEP_1)
	v_add_f64_e32 v[6:7], v[8:9], v[6:7]
	v_fma_f64 v[8:9], v[146:147], s[38:39], v[176:177]
	v_add_f64_e32 v[0:1], v[8:9], v[0:1]
	v_fma_f64 v[8:9], v[154:155], s[10:11], -v[180:181]
	s_delay_alu instid0(VALU_DEP_1) | instskip(SKIP_1) | instid1(VALU_DEP_1)
	v_add_f64_e32 v[6:7], v[8:9], v[6:7]
	v_fma_f64 v[8:9], v[158:159], s[60:61], v[118:119]
	v_add_f64_e32 v[0:1], v[8:9], v[0:1]
	v_fma_f64 v[8:9], v[170:171], s[30:31], v[192:193]
	s_delay_alu instid0(VALU_DEP_1) | instskip(SKIP_1) | instid1(VALU_DEP_1)
	v_add_f64_e32 v[0:1], v[8:9], v[0:1]
	v_fma_f64 v[8:9], v[178:179], s[34:35], v[196:197]
	v_add_f64_e32 v[0:1], v[8:9], v[0:1]
	v_fma_f64 v[8:9], v[164:165], s[16:17], -v[188:189]
	s_delay_alu instid0(VALU_DEP_1) | instskip(SKIP_1) | instid1(VALU_DEP_1)
	v_add_f64_e32 v[6:7], v[8:9], v[6:7]
	v_fma_f64 v[8:9], v[174:175], s[24:25], -v[194:195]
	v_add_f64_e32 v[6:7], v[8:9], v[6:7]
	v_fma_f64 v[8:9], v[182:183], s[0:1], -v[198:199]
	s_delay_alu instid0(VALU_DEP_1) | instskip(SKIP_1) | instid1(VALU_DEP_1)
	v_add_f64_e32 v[6:7], v[8:9], v[6:7]
	v_fma_f64 v[8:9], v[184:185], s[28:29], -v[200:201]
	v_add_f64_e32 v[6:7], v[8:9], v[6:7]
	v_fma_f64 v[8:9], v[190:191], s[48:49], v[202:203]
	s_delay_alu instid0(VALU_DEP_1) | instskip(SKIP_1) | instid1(VALU_DEP_3)
	v_add_f64_e32 v[0:1], v[8:9], v[0:1]
	s_wait_loadcnt 0x0
	v_mul_f64_e32 v[8:9], v[6:7], v[10:11]
	s_delay_alu instid0(VALU_DEP_2) | instskip(NEXT) | instid1(VALU_DEP_2)
	v_mul_f64_e32 v[10:11], v[0:1], v[10:11]
	v_fma_f64 v[63:64], v[0:1], v[39:40], v[8:9]
	v_fma_f64 v[0:1], v[126:127], s[44:45], v[27:28]
	v_fma_f64 v[8:9], v[138:139], s[10:11], -v[31:32]
	s_delay_alu instid0(VALU_DEP_4) | instskip(SKIP_1) | instid1(VALU_DEP_4)
	v_fma_f64 v[61:62], v[6:7], v[39:40], -v[10:11]
	v_fma_f64 v[6:7], v[130:131], s[52:53], v[23:24]
	v_add_f64_e32 v[0:1], v[19:20], v[0:1]
	s_clause 0x1
	scratch_load_b64 v[10:11], off, off offset:580 th:TH_LOAD_LU
	scratch_load_b64 v[23:24], off, off offset:444 th:TH_LOAD_LU
	v_add_f64_e32 v[0:1], v[6:7], v[0:1]
	v_fma_f64 v[6:7], v[142:143], s[54:55], v[21:22]
	scratch_load_b64 v[21:22], off, off offset:572 th:TH_LOAD_LU ; 8-byte Folded Reload
	v_add_f64_e32 v[0:1], v[6:7], v[0:1]
	v_fma_f64 v[6:7], v[146:147], s[40:41], v[25:26]
	s_delay_alu instid0(VALU_DEP_1) | instskip(SKIP_1) | instid1(VALU_DEP_1)
	v_add_f64_e32 v[0:1], v[6:7], v[0:1]
	v_fma_f64 v[6:7], v[158:159], s[34:35], v[132:133]
	v_add_f64_e32 v[0:1], v[6:7], v[0:1]
	v_fma_f64 v[6:7], v[170:171], s[60:61], v[140:141]
	s_delay_alu instid0(VALU_DEP_1) | instskip(SKIP_1) | instid1(VALU_DEP_1)
	v_add_f64_e32 v[0:1], v[6:7], v[0:1]
	v_fma_f64 v[6:7], v[178:179], s[26:27], v[150:151]
	v_add_f64_e32 v[0:1], v[6:7], v[0:1]
	v_fma_f64 v[6:7], v[134:135], s[14:15], -v[33:34]
	s_delay_alu instid0(VALU_DEP_1) | instskip(NEXT) | instid1(VALU_DEP_1)
	v_add_f64_e32 v[6:7], v[17:18], v[6:7]
	v_add_f64_e32 v[6:7], v[8:9], v[6:7]
	v_fma_f64 v[8:9], v[148:149], s[24:25], -v[29:30]
	s_wait_loadcnt 0x1
	v_fma_f64 v[23:24], v[148:149], s[28:29], -v[23:24]
	s_delay_alu instid0(VALU_DEP_2) | instskip(SKIP_1) | instid1(VALU_DEP_1)
	v_add_f64_e32 v[6:7], v[8:9], v[6:7]
	v_fma_f64 v[8:9], v[154:155], s[28:29], -v[128:129]
	v_add_f64_e32 v[6:7], v[8:9], v[6:7]
	v_fma_f64 v[8:9], v[164:165], s[0:1], -v[136:137]
	s_delay_alu instid0(VALU_DEP_1) | instskip(SKIP_1) | instid1(VALU_DEP_1)
	v_add_f64_e32 v[6:7], v[8:9], v[6:7]
	v_fma_f64 v[8:9], v[174:175], s[16:17], -v[144:145]
	v_add_f64_e32 v[6:7], v[8:9], v[6:7]
	v_fma_f64 v[8:9], v[182:183], s[18:19], -v[152:153]
	s_delay_alu instid0(VALU_DEP_1) | instskip(SKIP_1) | instid1(VALU_DEP_1)
	v_add_f64_e32 v[6:7], v[8:9], v[6:7]
	v_fma_f64 v[8:9], v[184:185], s[12:13], -v[156:157]
	v_add_f64_e32 v[6:7], v[8:9], v[6:7]
	v_fma_f64 v[8:9], v[190:191], s[42:43], v[160:161]
	s_delay_alu instid0(VALU_DEP_1) | instskip(NEXT) | instid1(VALU_DEP_3)
	v_add_f64_e32 v[0:1], v[8:9], v[0:1]
	v_mul_f64_e32 v[8:9], v[6:7], v[10:11]
	s_delay_alu instid0(VALU_DEP_2) | instskip(SKIP_1) | instid1(VALU_DEP_2)
	v_mul_f64_e32 v[10:11], v[0:1], v[10:11]
	s_wait_loadcnt 0x0
	v_fma_f64 v[200:201], v[0:1], v[21:22], v[8:9]
	v_fma_f64 v[0:1], v[126:127], s[46:47], v[65:66]
	v_fma_f64 v[8:9], v[138:139], s[0:1], -v[78:79]
	s_delay_alu instid0(VALU_DEP_4) | instskip(SKIP_1) | instid1(VALU_DEP_4)
	v_fma_f64 v[198:199], v[6:7], v[21:22], -v[10:11]
	v_fma_f64 v[6:7], v[130:131], s[34:35], v[72:73]
	v_add_f64_e32 v[0:1], v[19:20], v[0:1]
	s_clause 0x1
	scratch_load_b64 v[10:11], off, off offset:564 th:TH_LOAD_LU
	scratch_load_b64 v[21:22], off, off offset:556 th:TH_LOAD_LU
	v_add_f64_e32 v[0:1], v[6:7], v[0:1]
	v_fma_f64 v[6:7], v[142:143], s[50:51], v[100:101]
	s_delay_alu instid0(VALU_DEP_1) | instskip(SKIP_1) | instid1(VALU_DEP_1)
	v_add_f64_e32 v[0:1], v[6:7], v[0:1]
	v_fma_f64 v[6:7], v[146:147], s[36:37], v[43:44]
	v_add_f64_e32 v[0:1], v[6:7], v[0:1]
	v_fma_f64 v[6:7], v[158:159], s[40:41], v[59:60]
	s_delay_alu instid0(VALU_DEP_1) | instskip(SKIP_1) | instid1(VALU_DEP_1)
	v_add_f64_e32 v[0:1], v[6:7], v[0:1]
	v_fma_f64 v[6:7], v[170:171], s[38:39], v[67:68]
	v_add_f64_e32 v[0:1], v[6:7], v[0:1]
	v_fma_f64 v[6:7], v[178:179], s[58:59], v[35:36]
	s_delay_alu instid0(VALU_DEP_1) | instskip(SKIP_1) | instid1(VALU_DEP_1)
	v_add_f64_e32 v[0:1], v[6:7], v[0:1]
	v_fma_f64 v[6:7], v[134:135], s[16:17], -v[96:97]
	v_add_f64_e32 v[6:7], v[17:18], v[6:7]
	s_delay_alu instid0(VALU_DEP_1) | instskip(SKIP_1) | instid1(VALU_DEP_1)
	v_add_f64_e32 v[6:7], v[8:9], v[6:7]
	v_fma_f64 v[8:9], v[148:149], s[14:15], -v[76:77]
	v_add_f64_e32 v[6:7], v[8:9], v[6:7]
	v_fma_f64 v[8:9], v[154:155], s[18:19], -v[57:58]
	s_delay_alu instid0(VALU_DEP_1) | instskip(SKIP_1) | instid1(VALU_DEP_1)
	v_add_f64_e32 v[6:7], v[8:9], v[6:7]
	v_fma_f64 v[8:9], v[164:165], s[28:29], -v[47:48]
	v_add_f64_e32 v[6:7], v[8:9], v[6:7]
	v_fma_f64 v[8:9], v[174:175], s[10:11], -v[45:46]
	;; [unrolled: 5-line block ×3, first 2 shown]
	s_delay_alu instid0(VALU_DEP_1) | instskip(SKIP_1) | instid1(VALU_DEP_1)
	v_add_f64_e32 v[6:7], v[8:9], v[6:7]
	v_fma_f64 v[8:9], v[190:191], s[54:55], v[116:117]
	v_add_f64_e32 v[0:1], v[8:9], v[0:1]
	s_wait_loadcnt 0x1
	s_delay_alu instid0(VALU_DEP_3) | instskip(NEXT) | instid1(VALU_DEP_2)
	v_mul_f64_e32 v[8:9], v[6:7], v[10:11]
	v_mul_f64_e32 v[10:11], v[0:1], v[10:11]
	s_wait_loadcnt 0x0
	s_delay_alu instid0(VALU_DEP_2) | instskip(SKIP_2) | instid1(VALU_DEP_4)
	v_fma_f64 v[196:197], v[0:1], v[21:22], v[8:9]
	v_fma_f64 v[0:1], v[126:127], s[40:41], v[240:241]
	v_fma_f64 v[8:9], v[138:139], s[12:13], -v[236:237]
	v_fma_f64 v[194:195], v[6:7], v[21:22], -v[10:11]
	v_fma_f64 v[6:7], v[130:131], s[42:43], v[242:243]
	s_delay_alu instid0(VALU_DEP_4)
	v_add_f64_e32 v[0:1], v[19:20], v[0:1]
	s_clause 0x1
	scratch_load_b64 v[10:11], off, off offset:492 th:TH_LOAD_LU
	scratch_load_b64 v[21:22], off, off offset:484 th:TH_LOAD_LU
	v_add_f64_e32 v[0:1], v[6:7], v[0:1]
	v_fma_f64 v[6:7], v[142:143], s[56:57], v[110:111]
	s_delay_alu instid0(VALU_DEP_1) | instskip(SKIP_1) | instid1(VALU_DEP_1)
	v_add_f64_e32 v[0:1], v[6:7], v[0:1]
	v_fma_f64 v[6:7], v[146:147], s[50:51], v[108:109]
	v_add_f64_e32 v[0:1], v[6:7], v[0:1]
	v_fma_f64 v[6:7], v[158:159], s[54:55], v[80:81]
	s_delay_alu instid0(VALU_DEP_1) | instskip(SKIP_1) | instid1(VALU_DEP_1)
	v_add_f64_e32 v[0:1], v[6:7], v[0:1]
	v_fma_f64 v[6:7], v[170:171], s[26:27], v[84:85]
	v_add_f64_e32 v[0:1], v[6:7], v[0:1]
	v_fma_f64 v[6:7], v[134:135], s[28:29], -v[114:115]
	s_delay_alu instid0(VALU_DEP_1) | instskip(NEXT) | instid1(VALU_DEP_1)
	v_add_f64_e32 v[6:7], v[17:18], v[6:7]
	v_add_f64_e32 v[6:7], v[8:9], v[6:7]
	v_fma_f64 v[8:9], v[148:149], s[0:1], -v[238:239]
	s_delay_alu instid0(VALU_DEP_1) | instskip(SKIP_1) | instid1(VALU_DEP_1)
	v_add_f64_e32 v[6:7], v[8:9], v[6:7]
	v_fma_f64 v[8:9], v[154:155], s[14:15], -v[112:113]
	v_add_f64_e32 v[6:7], v[8:9], v[6:7]
	v_fma_f64 v[8:9], v[164:165], s[24:25], -v[82:83]
	s_delay_alu instid0(VALU_DEP_1) | instskip(SKIP_1) | instid1(VALU_DEP_1)
	v_add_f64_e32 v[6:7], v[8:9], v[6:7]
	v_fma_f64 v[8:9], v[174:175], s[18:19], -v[86:87]
	v_add_f64_e32 v[6:7], v[8:9], v[6:7]
	v_fma_f64 v[8:9], v[178:179], s[46:47], v[88:89]
	s_delay_alu instid0(VALU_DEP_1) | instskip(SKIP_1) | instid1(VALU_DEP_1)
	v_add_f64_e32 v[0:1], v[8:9], v[0:1]
	v_fma_f64 v[8:9], v[182:183], s[16:17], -v[90:91]
	v_add_f64_e32 v[6:7], v[8:9], v[6:7]
	v_fma_f64 v[8:9], v[184:185], s[10:11], -v[92:93]
	s_delay_alu instid0(VALU_DEP_1) | instskip(SKIP_1) | instid1(VALU_DEP_1)
	v_add_f64_e32 v[6:7], v[8:9], v[6:7]
	v_fma_f64 v[8:9], v[190:191], s[38:39], v[94:95]
	v_add_f64_e32 v[0:1], v[8:9], v[0:1]
	s_wait_loadcnt 0x1
	s_delay_alu instid0(VALU_DEP_3) | instskip(NEXT) | instid1(VALU_DEP_2)
	v_mul_f64_e32 v[8:9], v[6:7], v[10:11]
	v_mul_f64_e32 v[10:11], v[0:1], v[10:11]
	s_wait_loadcnt 0x0
	s_delay_alu instid0(VALU_DEP_2)
	v_fma_f64 v[236:237], v[0:1], v[21:22], v[8:9]
	scratch_load_b64 v[0:1], off, off offset:612 th:TH_LOAD_LU ; 8-byte Folded Reload
	v_fma_f64 v[234:235], v[6:7], v[21:22], -v[10:11]
	s_clause 0x3
	scratch_load_b64 v[6:7], off, off offset:620 th:TH_LOAD_LU
	scratch_load_b64 v[8:9], off, off offset:596 th:TH_LOAD_LU
	;; [unrolled: 1-line block ×4, first 2 shown]
	s_wait_loadcnt 0x4
	v_fma_f64 v[0:1], v[126:127], s[30:31], v[0:1]
	s_wait_loadcnt 0x3
	v_fma_f64 v[6:7], v[130:131], s[46:47], v[6:7]
	s_delay_alu instid0(VALU_DEP_2) | instskip(SKIP_2) | instid1(VALU_DEP_2)
	v_add_f64_e32 v[0:1], v[19:20], v[0:1]
	s_wait_loadcnt 0x2
	v_fma_f64 v[8:9], v[138:139], s[16:17], -v[8:9]
	v_add_f64_e32 v[0:1], v[6:7], v[0:1]
	scratch_load_b64 v[6:7], off, off offset:644 th:TH_LOAD_LU ; 8-byte Folded Reload
	s_wait_loadcnt 0x0
	v_fma_f64 v[6:7], v[142:143], s[42:43], v[6:7]
	s_delay_alu instid0(VALU_DEP_1) | instskip(SKIP_3) | instid1(VALU_DEP_1)
	v_add_f64_e32 v[0:1], v[6:7], v[0:1]
	scratch_load_b64 v[6:7], off, off offset:684 th:TH_LOAD_LU ; 8-byte Folded Reload
	s_wait_loadcnt 0x0
	v_fma_f64 v[6:7], v[146:147], s[34:35], v[6:7]
	v_add_f64_e32 v[0:1], v[6:7], v[0:1]
	scratch_load_b64 v[6:7], off, off offset:708 th:TH_LOAD_LU ; 8-byte Folded Reload
	s_wait_loadcnt 0x0
	v_fma_f64 v[6:7], v[158:159], s[52:53], v[6:7]
	s_delay_alu instid0(VALU_DEP_1) | instskip(SKIP_1) | instid1(VALU_DEP_1)
	v_add_f64_e32 v[0:1], v[6:7], v[0:1]
	v_fma_f64 v[6:7], v[170:171], s[50:51], v[232:233]
	v_add_f64_e32 v[0:1], v[6:7], v[0:1]
	scratch_load_b64 v[6:7], off, off offset:588 th:TH_LOAD_LU ; 8-byte Folded Reload
	s_wait_loadcnt 0x0
	v_fma_f64 v[6:7], v[134:135], s[24:25], -v[6:7]
	s_delay_alu instid0(VALU_DEP_1) | instskip(NEXT) | instid1(VALU_DEP_1)
	v_add_f64_e32 v[6:7], v[17:18], v[6:7]
	v_add_f64_e32 v[6:7], v[8:9], v[6:7]
	scratch_load_b64 v[8:9], off, off offset:604 th:TH_LOAD_LU ; 8-byte Folded Reload
	s_wait_loadcnt 0x0
	v_fma_f64 v[8:9], v[148:149], s[12:13], -v[8:9]
	s_delay_alu instid0(VALU_DEP_1) | instskip(SKIP_3) | instid1(VALU_DEP_1)
	v_add_f64_e32 v[6:7], v[8:9], v[6:7]
	scratch_load_b64 v[8:9], off, off offset:628 th:TH_LOAD_LU ; 8-byte Folded Reload
	s_wait_loadcnt 0x0
	v_fma_f64 v[8:9], v[154:155], s[0:1], -v[8:9]
	v_add_f64_e32 v[6:7], v[8:9], v[6:7]
	scratch_load_b64 v[8:9], off, off offset:636 th:TH_LOAD_LU ; 8-byte Folded Reload
	s_wait_loadcnt 0x0
	v_fma_f64 v[8:9], v[164:165], s[10:11], -v[8:9]
	s_delay_alu instid0(VALU_DEP_1) | instskip(SKIP_3) | instid1(VALU_DEP_1)
	v_add_f64_e32 v[6:7], v[8:9], v[6:7]
	scratch_load_b64 v[8:9], off, off offset:668 th:TH_LOAD_LU ; 8-byte Folded Reload
	s_wait_loadcnt 0x0
	v_fma_f64 v[8:9], v[174:175], s[14:15], -v[8:9]
	v_add_f64_e32 v[6:7], v[8:9], v[6:7]
	scratch_load_b64 v[8:9], off, off offset:676 th:TH_LOAD_LU ; 8-byte Folded Reload
	s_wait_loadcnt 0x0
	v_fma_f64 v[8:9], v[178:179], s[48:49], v[8:9]
	s_delay_alu instid0(VALU_DEP_1) | instskip(SKIP_3) | instid1(VALU_DEP_1)
	v_add_f64_e32 v[0:1], v[8:9], v[0:1]
	scratch_load_b64 v[8:9], off, off offset:692 th:TH_LOAD_LU ; 8-byte Folded Reload
	s_wait_loadcnt 0x0
	v_fma_f64 v[8:9], v[182:183], s[28:29], -v[8:9]
	v_add_f64_e32 v[6:7], v[8:9], v[6:7]
	scratch_load_b64 v[8:9], off, off offset:700 th:TH_LOAD_LU ; 8-byte Folded Reload
	s_wait_loadcnt 0x0
	v_fma_f64 v[8:9], v[184:185], s[18:19], -v[8:9]
	s_delay_alu instid0(VALU_DEP_1) | instskip(SKIP_1) | instid1(VALU_DEP_1)
	v_add_f64_e32 v[6:7], v[8:9], v[6:7]
	v_fma_f64 v[8:9], v[190:191], s[36:37], v[228:229]
	v_add_f64_e32 v[0:1], v[8:9], v[0:1]
	s_delay_alu instid0(VALU_DEP_3) | instskip(NEXT) | instid1(VALU_DEP_2)
	v_mul_f64_e32 v[8:9], v[6:7], v[10:11]
	v_mul_f64_e32 v[10:11], v[0:1], v[10:11]
	s_delay_alu instid0(VALU_DEP_2)
	v_fma_f64 v[124:125], v[0:1], v[21:22], v[8:9]
	s_clause 0x1
	scratch_load_b64 v[0:1], off, off offset:380 th:TH_LOAD_LU
	scratch_load_b64 v[8:9], off, off offset:340 th:TH_LOAD_LU
	v_fma_f64 v[122:123], v[6:7], v[21:22], -v[10:11]
	s_clause 0x2
	scratch_load_b64 v[10:11], off, off offset:396 th:TH_LOAD_LU
	scratch_load_b64 v[21:22], off, off offset:412 th:TH_LOAD_LU
	;; [unrolled: 1-line block ×3, first 2 shown]
	s_wait_loadcnt 0x4
	v_fma_f64 v[0:1], v[134:135], s[18:19], -v[0:1]
	s_wait_loadcnt 0x3
	v_fma_f64 v[8:9], v[130:131], s[30:31], v[8:9]
	s_wait_loadcnt 0x2
	v_fma_f64 v[10:11], v[138:139], s[24:25], -v[10:11]
	s_delay_alu instid0(VALU_DEP_3) | instskip(SKIP_2) | instid1(VALU_DEP_2)
	v_add_f64_e32 v[0:1], v[17:18], v[0:1]
	s_wait_loadcnt 0x1
	v_fma_f64 v[21:22], v[142:143], s[40:41], v[21:22]
	v_add_f64_e32 v[0:1], v[10:11], v[0:1]
	scratch_load_b64 v[10:11], off, off offset:468 th:TH_LOAD_LU ; 8-byte Folded Reload
	v_add_f64_e32 v[0:1], v[23:24], v[0:1]
	scratch_load_b64 v[23:24], off, off offset:500 th:TH_LOAD_LU ; 8-byte Folded Reload
	s_wait_loadcnt 0x1
	v_fma_f64 v[10:11], v[154:155], s[16:17], -v[10:11]
	s_delay_alu instid0(VALU_DEP_1) | instskip(SKIP_3) | instid1(VALU_DEP_1)
	v_add_f64_e32 v[0:1], v[10:11], v[0:1]
	scratch_load_b64 v[10:11], off, off offset:516 th:TH_LOAD_LU ; 8-byte Folded Reload
	s_wait_loadcnt 0x1
	v_fma_f64 v[23:24], v[164:165], s[14:15], -v[23:24]
	v_add_f64_e32 v[0:1], v[23:24], v[0:1]
	scratch_load_b64 v[23:24], off, off offset:532 th:TH_LOAD_LU ; 8-byte Folded Reload
	s_wait_loadcnt 0x1
	v_fma_f64 v[10:11], v[174:175], s[12:13], -v[10:11]
	s_delay_alu instid0(VALU_DEP_1) | instskip(SKIP_3) | instid1(VALU_DEP_1)
	v_add_f64_e32 v[0:1], v[10:11], v[0:1]
	scratch_load_b64 v[10:11], off, off offset:540 th:TH_LOAD_LU ; 8-byte Folded Reload
	s_wait_loadcnt 0x1
	v_fma_f64 v[23:24], v[182:183], s[10:11], -v[23:24]
	v_add_f64_e32 v[0:1], v[23:24], v[0:1]
	s_wait_loadcnt 0x0
	v_fma_f64 v[10:11], v[184:185], s[0:1], -v[10:11]
	s_mul_u64 s[0:1], s[64:65], s[22:23]
	s_wait_alu 0xfffe
	s_lshl_b64 s[0:1], s[0:1], 4
	s_wait_alu 0xfffe
	s_add_nc_u64 s[0:1], s[2:3], s[0:1]
	s_lshl_b64 s[2:3], s[20:21], 4
	s_wait_alu 0xfffe
	s_add_nc_u64 s[0:1], s[0:1], s[2:3]
	s_delay_alu instid0(VALU_DEP_1) | instskip(SKIP_2) | instid1(VALU_DEP_1)
	v_add_f64_e32 v[0:1], v[10:11], v[0:1]
	scratch_load_b64 v[10:11], off, off offset:180 th:TH_LOAD_LU ; 8-byte Folded Reload
	v_fma_f64 v[6:7], v[126:127], s[26:27], v[6:7]
	v_add_f64_e32 v[6:7], v[19:20], v[6:7]
	s_delay_alu instid0(VALU_DEP_1)
	v_add_f64_e32 v[6:7], v[8:9], v[6:7]
	scratch_load_b64 v[8:9], off, off offset:452 th:TH_LOAD_LU ; 8-byte Folded Reload
	v_add_f64_e32 v[6:7], v[21:22], v[6:7]
	scratch_load_b64 v[21:22], off, off offset:476 th:TH_LOAD_LU ; 8-byte Folded Reload
	s_wait_loadcnt 0x1
	v_fma_f64 v[8:9], v[146:147], s[46:47], v[8:9]
	s_delay_alu instid0(VALU_DEP_1) | instskip(SKIP_3) | instid1(VALU_DEP_1)
	v_add_f64_e32 v[6:7], v[8:9], v[6:7]
	scratch_load_b64 v[8:9], off, off offset:508 th:TH_LOAD_LU ; 8-byte Folded Reload
	s_wait_loadcnt 0x1
	v_fma_f64 v[21:22], v[158:159], s[44:45], v[21:22]
	v_add_f64_e32 v[6:7], v[21:22], v[6:7]
	scratch_load_b64 v[21:22], off, off offset:524 th:TH_LOAD_LU ; 8-byte Folded Reload
	s_wait_loadcnt 0x1
	v_fma_f64 v[8:9], v[170:171], s[42:43], v[8:9]
	s_delay_alu instid0(VALU_DEP_1) | instskip(SKIP_3) | instid1(VALU_DEP_1)
	v_add_f64_e32 v[6:7], v[8:9], v[6:7]
	scratch_load_b64 v[8:9], off, off offset:548 th:TH_LOAD_LU ; 8-byte Folded Reload
	s_wait_loadcnt 0x1
	v_fma_f64 v[21:22], v[178:179], s[38:39], v[21:22]
	v_add_f64_e32 v[6:7], v[21:22], v[6:7]
	scratch_load_b64 v[21:22], off, off offset:172 th:TH_LOAD_LU ; 8-byte Folded Reload
	s_wait_loadcnt 0x1
	v_fma_f64 v[8:9], v[190:191], s[34:35], v[8:9]
	s_delay_alu instid0(VALU_DEP_1) | instskip(SKIP_1) | instid1(VALU_DEP_2)
	v_add_f64_e32 v[6:7], v[8:9], v[6:7]
	v_mul_f64_e32 v[8:9], v[0:1], v[10:11]
	v_mul_f64_e32 v[10:11], v[6:7], v[10:11]
	s_wait_loadcnt 0x0
	s_delay_alu instid0(VALU_DEP_2)
	v_fma_f64 v[120:121], v[6:7], v[21:22], v[8:9]
	s_clause 0x1
	scratch_load_b64 v[8:9], off, off offset:228 th:TH_LOAD_LU
	scratch_load_b64 v[6:7], off, off offset:188 th:TH_LOAD_LU
	v_fma_f64 v[118:119], v[0:1], v[21:22], -v[10:11]
	s_clause 0x1
	scratch_load_b64 v[0:1], off, off offset:204 th:TH_LOAD_LU
	scratch_load_b64 v[10:11], off, off offset:116 th:TH_LOAD_LU
	s_wait_loadcnt 0x2
	v_add_f64_e32 v[6:7], v[19:20], v[6:7]
	s_wait_loadcnt 0x1
	v_add_f64_e32 v[0:1], v[17:18], v[0:1]
	scratch_load_b64 v[16:17], off, off offset:108 th:TH_LOAD_LU ; 8-byte Folded Reload
	v_add_f64_e32 v[0:1], v[0:1], v[8:9]
	scratch_load_b64 v[8:9], off, off offset:212 th:TH_LOAD_LU ; 8-byte Folded Reload
	s_wait_loadcnt 0x0
	v_add_f64_e32 v[6:7], v[6:7], v[8:9]
	scratch_load_b64 v[8:9], off, off offset:244 th:TH_LOAD_LU ; 8-byte Folded Reload
	s_wait_loadcnt 0x0
	;; [unrolled: 3-line block ×29, first 2 shown]
	v_add_f64_e32 v[6:7], v[6:7], v[8:9]
	v_mul_f64_e32 v[8:9], v[0:1], v[10:11]
	s_delay_alu instid0(VALU_DEP_2) | instskip(NEXT) | instid1(VALU_DEP_2)
	v_mul_f64_e32 v[10:11], v[6:7], v[10:11]
	v_fma_f64 v[19:20], v[6:7], v[16:17], v[8:9]
	scratch_load_b32 v6, off, off th:TH_LOAD_LU ; 4-byte Folded Reload
	v_fma_f64 v[17:18], v[0:1], v[16:17], -v[10:11]
	s_wait_loadcnt 0x0
	v_mad_co_u64_u32 v[0:1], null, s6, v6, 0
	s_delay_alu instid0(VALU_DEP_1) | instskip(SKIP_2) | instid1(VALU_DEP_1)
	v_mad_co_u64_u32 v[6:7], null, s7, v6, v[1:2]
	scratch_load_b32 v7, off, off offset:100 th:TH_LOAD_LU ; 4-byte Folded Reload
	v_dual_mov_b32 v1, v6 :: v_dual_and_b32 v6, 0xffff, v71
	v_lshlrev_b64_e32 v[0:1], 4, v[0:1]
	s_delay_alu instid0(VALU_DEP_2) | instskip(NEXT) | instid1(VALU_DEP_1)
	v_mul_u32_u24_e32 v6, 0x227, v6
	v_lshrrev_b32_e32 v6, 16, v6
	s_wait_alu 0xfffe
	s_delay_alu instid0(VALU_DEP_3) | instskip(SKIP_3) | instid1(VALU_DEP_1)
	v_add_co_u32 v22, vcc_lo, s0, v0
	s_wait_alu 0xfffd
	v_add_co_ci_u32_e32 v23, vcc_lo, s1, v1, vcc_lo
	v_mul_lo_u16 v6, 0x121, v6
	v_and_b32_e32 v6, 0xffff, v6
	s_wait_loadcnt 0x0
	s_delay_alu instid0(VALU_DEP_1) | instskip(NEXT) | instid1(VALU_DEP_1)
	v_add_nc_u32_e32 v21, v7, v6
	v_mad_co_u64_u32 v[6:7], null, s4, v21, 0
	v_add_nc_u32_e32 v11, 0x55, v21
	v_add_nc_u32_e32 v16, 0x66, v21
	;; [unrolled: 1-line block ×4, first 2 shown]
	v_mad_co_u64_u32 v[7:8], null, s5, v21, v[7:8]
	v_add_nc_u32_e32 v8, 51, v21
	s_delay_alu instid0(VALU_DEP_2) | instskip(SKIP_1) | instid1(VALU_DEP_2)
	v_lshlrev_b64_e32 v[0:1], 4, v[6:7]
	v_add_nc_u32_e32 v6, 17, v21
	v_add_co_u32 v0, vcc_lo, v22, v0
	s_wait_alu 0xfffd
	s_delay_alu instid0(VALU_DEP_3) | instskip(SKIP_3) | instid1(VALU_DEP_2)
	v_add_co_ci_u32_e32 v1, vcc_lo, v23, v1, vcc_lo
	global_store_b128 v[0:1], v[17:20], off
	v_mad_co_u64_u32 v[0:1], null, s4, v6, 0
	v_add_nc_u32_e32 v20, 0x77, v21
	v_mad_co_u64_u32 v[6:7], null, s5, v6, v[1:2]
	s_delay_alu instid0(VALU_DEP_1) | instskip(NEXT) | instid1(VALU_DEP_1)
	v_dual_mov_b32 v1, v6 :: v_dual_add_nc_u32 v6, 34, v21
	v_lshlrev_b64_e32 v[0:1], 4, v[0:1]
	s_delay_alu instid0(VALU_DEP_1) | instskip(SKIP_1) | instid1(VALU_DEP_2)
	v_add_co_u32 v0, vcc_lo, v22, v0
	s_wait_alu 0xfffd
	v_add_co_ci_u32_e32 v1, vcc_lo, v23, v1, vcc_lo
	global_store_b128 v[0:1], v[118:121], off
	v_mad_co_u64_u32 v[0:1], null, s4, v6, 0
	s_delay_alu instid0(VALU_DEP_1) | instskip(NEXT) | instid1(VALU_DEP_1)
	v_mad_co_u64_u32 v[6:7], null, s5, v6, v[1:2]
	v_mov_b32_e32 v1, v6
	v_mad_co_u64_u32 v[6:7], null, s4, v8, 0
	s_delay_alu instid0(VALU_DEP_2) | instskip(NEXT) | instid1(VALU_DEP_1)
	v_lshlrev_b64_e32 v[0:1], 4, v[0:1]
	v_add_co_u32 v0, vcc_lo, v22, v0
	s_wait_alu 0xfffd
	s_delay_alu instid0(VALU_DEP_2) | instskip(SKIP_2) | instid1(VALU_DEP_1)
	v_add_co_ci_u32_e32 v1, vcc_lo, v23, v1, vcc_lo
	global_store_b128 v[0:1], v[122:125], off
	v_mov_b32_e32 v0, v7
	v_mad_co_u64_u32 v[0:1], null, s5, v8, v[0:1]
	s_delay_alu instid0(VALU_DEP_1) | instskip(NEXT) | instid1(VALU_DEP_1)
	v_dual_mov_b32 v7, v0 :: v_dual_add_nc_u32 v8, 0x44, v21
	v_mad_co_u64_u32 v[0:1], null, s4, v8, 0
	s_delay_alu instid0(VALU_DEP_2) | instskip(NEXT) | instid1(VALU_DEP_2)
	v_lshlrev_b64_e32 v[6:7], 4, v[6:7]
	v_mad_co_u64_u32 v[8:9], null, s5, v8, v[1:2]
	v_mad_co_u64_u32 v[9:10], null, s4, v11, 0
	s_delay_alu instid0(VALU_DEP_3) | instskip(SKIP_1) | instid1(VALU_DEP_4)
	v_add_co_u32 v6, vcc_lo, v22, v6
	s_wait_alu 0xfffd
	v_add_co_ci_u32_e32 v7, vcc_lo, v23, v7, vcc_lo
	s_delay_alu instid0(VALU_DEP_4) | instskip(SKIP_3) | instid1(VALU_DEP_2)
	v_mov_b32_e32 v1, v8
	global_store_b128 v[6:7], v[234:237], off
	v_mov_b32_e32 v6, v10
	v_lshlrev_b64_e32 v[0:1], 4, v[0:1]
	v_mad_co_u64_u32 v[6:7], null, s5, v11, v[6:7]
	v_mad_co_u64_u32 v[7:8], null, s4, v16, 0
	s_delay_alu instid0(VALU_DEP_3) | instskip(SKIP_1) | instid1(VALU_DEP_4)
	v_add_co_u32 v0, vcc_lo, v22, v0
	s_wait_alu 0xfffd
	v_add_co_ci_u32_e32 v1, vcc_lo, v23, v1, vcc_lo
	s_delay_alu instid0(VALU_DEP_4) | instskip(NEXT) | instid1(VALU_DEP_4)
	v_mov_b32_e32 v10, v6
	v_mov_b32_e32 v6, v8
	s_delay_alu instid0(VALU_DEP_2) | instskip(NEXT) | instid1(VALU_DEP_2)
	v_lshlrev_b64_e32 v[8:9], 4, v[9:10]
	v_mad_co_u64_u32 v[10:11], null, s5, v16, v[6:7]
	v_mad_co_u64_u32 v[16:17], null, s4, v20, 0
	s_delay_alu instid0(VALU_DEP_3) | instskip(SKIP_1) | instid1(VALU_DEP_4)
	v_add_co_u32 v18, vcc_lo, v22, v8
	s_wait_alu 0xfffd
	v_add_co_ci_u32_e32 v19, vcc_lo, v23, v9, vcc_lo
	s_delay_alu instid0(VALU_DEP_4)
	v_mov_b32_e32 v8, v10
	s_clause 0x1
	global_store_b128 v[0:1], v[194:197], off
	global_store_b128 v[18:19], v[198:201], off
	v_mov_b32_e32 v0, v17
	v_mad_co_u64_u32 v[10:11], null, s4, v25, 0
	v_lshlrev_b64_e32 v[6:7], 4, v[7:8]
	v_mad_co_u64_u32 v[8:9], null, s4, v24, 0
	s_delay_alu instid0(VALU_DEP_4) | instskip(SKIP_1) | instid1(VALU_DEP_4)
	v_mad_co_u64_u32 v[0:1], null, s5, v20, v[0:1]
	v_add_nc_u32_e32 v20, 0xaa, v21
	v_add_co_u32 v6, vcc_lo, v22, v6
	s_wait_alu 0xfffd
	v_add_co_ci_u32_e32 v7, vcc_lo, v23, v7, vcc_lo
	s_delay_alu instid0(VALU_DEP_3)
	v_mad_co_u64_u32 v[18:19], null, s4, v20, 0
	v_dual_mov_b32 v17, v0 :: v_dual_mov_b32 v0, v9
	v_mov_b32_e32 v1, v11
	global_store_b128 v[6:7], v[61:64], off
	v_lshlrev_b64_e32 v[6:7], 4, v[16:17]
	v_mad_co_u64_u32 v[16:17], null, s5, v24, v[0:1]
	v_mad_co_u64_u32 v[0:1], null, s5, v25, v[1:2]
	v_mov_b32_e32 v1, v19
	s_delay_alu instid0(VALU_DEP_4)
	v_add_co_u32 v6, vcc_lo, v22, v6
	s_wait_alu 0xfffd
	v_add_co_ci_u32_e32 v7, vcc_lo, v23, v7, vcc_lo
	v_mov_b32_e32 v9, v16
	v_mad_co_u64_u32 v[16:17], null, s5, v20, v[1:2]
	v_mov_b32_e32 v11, v0
	global_store_b128 v[6:7], v[53:56], off
	v_lshlrev_b64_e32 v[0:1], 4, v[8:9]
	v_add_nc_u32_e32 v17, 0xbb, v21
	v_lshlrev_b64_e32 v[8:9], 4, v[10:11]
	v_mov_b32_e32 v19, v16
	s_delay_alu instid0(VALU_DEP_4) | instskip(SKIP_2) | instid1(VALU_DEP_3)
	v_add_co_u32 v0, vcc_lo, v22, v0
	s_wait_alu 0xfffd
	v_add_co_ci_u32_e32 v1, vcc_lo, v23, v1, vcc_lo
	v_lshlrev_b64_e32 v[10:11], 4, v[18:19]
	v_add_co_u32 v8, vcc_lo, v22, v8
	s_wait_alu 0xfffd
	v_add_co_ci_u32_e32 v9, vcc_lo, v23, v9, vcc_lo
	v_mad_co_u64_u32 v[6:7], null, s4, v17, 0
	s_delay_alu instid0(VALU_DEP_4)
	v_add_co_u32 v10, vcc_lo, v22, v10
	s_wait_alu 0xfffd
	v_add_co_ci_u32_e32 v11, vcc_lo, v23, v11, vcc_lo
	s_clause 0x2
	global_store_b128 v[0:1], v[2:5], off
	global_store_b128 v[8:9], v[49:52], off
	;; [unrolled: 1-line block ×3, first 2 shown]
	scratch_load_b128 v[10:13], off, off offset:84 th:TH_LOAD_LU ; 16-byte Folded Reload
	v_mad_co_u64_u32 v[16:17], null, s5, v17, v[7:8]
	v_add_nc_u32_e32 v19, 0xcc, v21
	v_add_nc_u32_e32 v9, 0xee, v21
	s_delay_alu instid0(VALU_DEP_2) | instskip(NEXT) | instid1(VALU_DEP_4)
	v_mad_co_u64_u32 v[17:18], null, s4, v19, 0
	v_mov_b32_e32 v7, v16
	s_delay_alu instid0(VALU_DEP_1) | instskip(NEXT) | instid1(VALU_DEP_3)
	v_lshlrev_b64_e32 v[1:2], 4, v[6:7]
	v_dual_mov_b32 v0, v18 :: v_dual_add_nc_u32 v7, 0xdd, v21
	s_delay_alu instid0(VALU_DEP_1) | instskip(NEXT) | instid1(VALU_DEP_2)
	v_mad_co_u64_u32 v[3:4], null, s5, v19, v[0:1]
	v_mad_co_u64_u32 v[4:5], null, s4, v7, 0
	v_add_co_u32 v0, vcc_lo, v22, v1
	s_wait_alu 0xfffd
	v_add_co_ci_u32_e32 v1, vcc_lo, v23, v2, vcc_lo
	s_delay_alu instid0(VALU_DEP_4)
	v_mov_b32_e32 v18, v3
	v_mad_co_u64_u32 v[2:3], null, s4, v9, 0
	s_wait_loadcnt 0x0
	global_store_b128 v[0:1], v[10:13], off
	v_mov_b32_e32 v0, v5
	v_lshlrev_b64_e32 v[5:6], 4, v[17:18]
	scratch_load_b128 v[14:17], off, off offset:68 th:TH_LOAD_LU ; 16-byte Folded Reload
	v_dual_mov_b32 v1, v3 :: v_dual_add_nc_u32 v12, 0xff, v21
	v_add_nc_u32_e32 v13, 0x110, v21
	s_delay_alu instid0(VALU_DEP_2) | instskip(NEXT) | instid1(VALU_DEP_3)
	v_mad_co_u64_u32 v[10:11], null, s4, v12, 0
	v_mad_co_u64_u32 v[7:8], null, s5, v7, v[0:1]
	;; [unrolled: 1-line block ×3, first 2 shown]
	v_add_co_u32 v8, vcc_lo, v22, v5
	s_wait_alu 0xfffd
	v_add_co_ci_u32_e32 v9, vcc_lo, v23, v6, vcc_lo
	s_delay_alu instid0(VALU_DEP_4) | instskip(SKIP_2) | instid1(VALU_DEP_3)
	v_mov_b32_e32 v5, v7
	v_mad_co_u64_u32 v[6:7], null, s4, v13, 0
	v_dual_mov_b32 v3, v0 :: v_dual_mov_b32 v0, v11
                                        ; kill: def $vgpr1 killed $sgpr0 killed $exec
	v_lshlrev_b64_e32 v[4:5], 4, v[4:5]
	s_delay_alu instid0(VALU_DEP_2) | instskip(NEXT) | instid1(VALU_DEP_3)
	v_lshlrev_b64_e32 v[2:3], 4, v[2:3]
	v_mad_co_u64_u32 v[0:1], null, s5, v12, v[0:1]
	v_mov_b32_e32 v1, v7
	s_delay_alu instid0(VALU_DEP_2)
	v_mov_b32_e32 v11, v0
	v_add_co_u32 v0, vcc_lo, v22, v4
	s_wait_loadcnt 0x0
	global_store_b128 v[8:9], v[14:17], off
	v_mad_co_u64_u32 v[7:8], null, s5, v13, v[1:2]
	s_wait_alu 0xfffd
	v_add_co_ci_u32_e32 v1, vcc_lo, v23, v5, vcc_lo
	v_lshlrev_b64_e32 v[4:5], 4, v[10:11]
	scratch_load_b128 v[8:11], off, off offset:52 th:TH_LOAD_LU ; 16-byte Folded Reload
	v_add_co_u32 v2, vcc_lo, v22, v2
	s_wait_alu 0xfffd
	v_add_co_ci_u32_e32 v3, vcc_lo, v23, v3, vcc_lo
	v_add_co_u32 v4, vcc_lo, v22, v4
	s_wait_alu 0xfffd
	v_add_co_ci_u32_e32 v5, vcc_lo, v23, v5, vcc_lo
	v_lshlrev_b64_e32 v[6:7], 4, v[6:7]
	s_delay_alu instid0(VALU_DEP_1) | instskip(SKIP_1) | instid1(VALU_DEP_2)
	v_add_co_u32 v6, vcc_lo, v22, v6
	s_wait_alu 0xfffd
	v_add_co_ci_u32_e32 v7, vcc_lo, v23, v7, vcc_lo
	s_wait_loadcnt 0x0
	global_store_b128 v[0:1], v[8:11], off
	scratch_load_b128 v[8:11], off, off offset:36 th:TH_LOAD_LU ; 16-byte Folded Reload
	s_wait_loadcnt 0x0
	global_store_b128 v[2:3], v[8:11], off
	scratch_load_b128 v[0:3], off, off offset:20 th:TH_LOAD_LU ; 16-byte Folded Reload
	;; [unrolled: 3-line block ×3, first 2 shown]
	s_wait_loadcnt 0x0
	global_store_b128 v[6:7], v[0:3], off
.LBB0_16:
	s_endpgm
	.section	.rodata,"a",@progbits
	.p2align	6, 0x0
	.amdhsa_kernel fft_rtc_fwd_len289_factors_17_17_wgs_119_tpt_17_dp_op_CI_CI_sbcc_twdbase8_3step_dirReg
		.amdhsa_group_segment_fixed_size 0
		.amdhsa_private_segment_fixed_size 720
		.amdhsa_kernarg_size 112
		.amdhsa_user_sgpr_count 2
		.amdhsa_user_sgpr_dispatch_ptr 0
		.amdhsa_user_sgpr_queue_ptr 0
		.amdhsa_user_sgpr_kernarg_segment_ptr 1
		.amdhsa_user_sgpr_dispatch_id 0
		.amdhsa_user_sgpr_private_segment_size 0
		.amdhsa_wavefront_size32 1
		.amdhsa_uses_dynamic_stack 0
		.amdhsa_enable_private_segment 1
		.amdhsa_system_sgpr_workgroup_id_x 1
		.amdhsa_system_sgpr_workgroup_id_y 0
		.amdhsa_system_sgpr_workgroup_id_z 0
		.amdhsa_system_sgpr_workgroup_info 0
		.amdhsa_system_vgpr_workitem_id 0
		.amdhsa_next_free_vgpr 256
		.amdhsa_next_free_sgpr 67
		.amdhsa_reserve_vcc 1
		.amdhsa_float_round_mode_32 0
		.amdhsa_float_round_mode_16_64 0
		.amdhsa_float_denorm_mode_32 3
		.amdhsa_float_denorm_mode_16_64 3
		.amdhsa_fp16_overflow 0
		.amdhsa_workgroup_processor_mode 1
		.amdhsa_memory_ordered 1
		.amdhsa_forward_progress 0
		.amdhsa_round_robin_scheduling 0
		.amdhsa_exception_fp_ieee_invalid_op 0
		.amdhsa_exception_fp_denorm_src 0
		.amdhsa_exception_fp_ieee_div_zero 0
		.amdhsa_exception_fp_ieee_overflow 0
		.amdhsa_exception_fp_ieee_underflow 0
		.amdhsa_exception_fp_ieee_inexact 0
		.amdhsa_exception_int_div_zero 0
	.end_amdhsa_kernel
	.text
.Lfunc_end0:
	.size	fft_rtc_fwd_len289_factors_17_17_wgs_119_tpt_17_dp_op_CI_CI_sbcc_twdbase8_3step_dirReg, .Lfunc_end0-fft_rtc_fwd_len289_factors_17_17_wgs_119_tpt_17_dp_op_CI_CI_sbcc_twdbase8_3step_dirReg
                                        ; -- End function
	.section	.AMDGPU.csdata,"",@progbits
; Kernel info:
; codeLenInByte = 20988
; NumSgprs: 69
; NumVgprs: 256
; ScratchSize: 720
; MemoryBound: 1
; FloatMode: 240
; IeeeMode: 1
; LDSByteSize: 0 bytes/workgroup (compile time only)
; SGPRBlocks: 8
; VGPRBlocks: 31
; NumSGPRsForWavesPerEU: 69
; NumVGPRsForWavesPerEU: 256
; Occupancy: 5
; WaveLimiterHint : 1
; COMPUTE_PGM_RSRC2:SCRATCH_EN: 1
; COMPUTE_PGM_RSRC2:USER_SGPR: 2
; COMPUTE_PGM_RSRC2:TRAP_HANDLER: 0
; COMPUTE_PGM_RSRC2:TGID_X_EN: 1
; COMPUTE_PGM_RSRC2:TGID_Y_EN: 0
; COMPUTE_PGM_RSRC2:TGID_Z_EN: 0
; COMPUTE_PGM_RSRC2:TIDIG_COMP_CNT: 0
	.text
	.p2alignl 7, 3214868480
	.fill 96, 4, 3214868480
	.type	__hip_cuid_aa56862f3f5bc558,@object ; @__hip_cuid_aa56862f3f5bc558
	.section	.bss,"aw",@nobits
	.globl	__hip_cuid_aa56862f3f5bc558
__hip_cuid_aa56862f3f5bc558:
	.byte	0                               ; 0x0
	.size	__hip_cuid_aa56862f3f5bc558, 1

	.ident	"AMD clang version 19.0.0git (https://github.com/RadeonOpenCompute/llvm-project roc-6.4.0 25133 c7fe45cf4b819c5991fe208aaa96edf142730f1d)"
	.section	".note.GNU-stack","",@progbits
	.addrsig
	.addrsig_sym __hip_cuid_aa56862f3f5bc558
	.amdgpu_metadata
---
amdhsa.kernels:
  - .args:
      - .actual_access:  read_only
        .address_space:  global
        .offset:         0
        .size:           8
        .value_kind:     global_buffer
      - .address_space:  global
        .offset:         8
        .size:           8
        .value_kind:     global_buffer
      - .offset:         16
        .size:           8
        .value_kind:     by_value
      - .actual_access:  read_only
        .address_space:  global
        .offset:         24
        .size:           8
        .value_kind:     global_buffer
      - .actual_access:  read_only
        .address_space:  global
        .offset:         32
        .size:           8
        .value_kind:     global_buffer
      - .actual_access:  read_only
        .address_space:  global
        .offset:         40
        .size:           8
        .value_kind:     global_buffer
      - .offset:         48
        .size:           8
        .value_kind:     by_value
      - .actual_access:  read_only
        .address_space:  global
        .offset:         56
        .size:           8
        .value_kind:     global_buffer
      - .actual_access:  read_only
        .address_space:  global
        .offset:         64
        .size:           8
        .value_kind:     global_buffer
      - .offset:         72
        .size:           4
        .value_kind:     by_value
      - .actual_access:  read_only
        .address_space:  global
        .offset:         80
        .size:           8
        .value_kind:     global_buffer
      - .actual_access:  read_only
        .address_space:  global
        .offset:         88
        .size:           8
        .value_kind:     global_buffer
      - .actual_access:  read_only
        .address_space:  global
        .offset:         96
        .size:           8
        .value_kind:     global_buffer
      - .actual_access:  write_only
        .address_space:  global
        .offset:         104
        .size:           8
        .value_kind:     global_buffer
    .group_segment_fixed_size: 0
    .kernarg_segment_align: 8
    .kernarg_segment_size: 112
    .language:       OpenCL C
    .language_version:
      - 2
      - 0
    .max_flat_workgroup_size: 119
    .name:           fft_rtc_fwd_len289_factors_17_17_wgs_119_tpt_17_dp_op_CI_CI_sbcc_twdbase8_3step_dirReg
    .private_segment_fixed_size: 720
    .sgpr_count:     69
    .sgpr_spill_count: 0
    .symbol:         fft_rtc_fwd_len289_factors_17_17_wgs_119_tpt_17_dp_op_CI_CI_sbcc_twdbase8_3step_dirReg.kd
    .uniform_work_group_size: 1
    .uses_dynamic_stack: false
    .vgpr_count:     256
    .vgpr_spill_count: 220
    .wavefront_size: 32
    .workgroup_processor_mode: 1
amdhsa.target:   amdgcn-amd-amdhsa--gfx1201
amdhsa.version:
  - 1
  - 2
...

	.end_amdgpu_metadata
